;; amdgpu-corpus repo=ROCm/rocFFT kind=compiled arch=gfx1100 opt=O3
	.text
	.amdgcn_target "amdgcn-amd-amdhsa--gfx1100"
	.amdhsa_code_object_version 6
	.protected	fft_rtc_fwd_len150_factors_10_5_3_wgs_60_tpt_5_halfLds_dp_op_CI_CI_unitstride_sbrr_C2R_dirReg ; -- Begin function fft_rtc_fwd_len150_factors_10_5_3_wgs_60_tpt_5_halfLds_dp_op_CI_CI_unitstride_sbrr_C2R_dirReg
	.globl	fft_rtc_fwd_len150_factors_10_5_3_wgs_60_tpt_5_halfLds_dp_op_CI_CI_unitstride_sbrr_C2R_dirReg
	.p2align	8
	.type	fft_rtc_fwd_len150_factors_10_5_3_wgs_60_tpt_5_halfLds_dp_op_CI_CI_unitstride_sbrr_C2R_dirReg,@function
fft_rtc_fwd_len150_factors_10_5_3_wgs_60_tpt_5_halfLds_dp_op_CI_CI_unitstride_sbrr_C2R_dirReg: ; @fft_rtc_fwd_len150_factors_10_5_3_wgs_60_tpt_5_halfLds_dp_op_CI_CI_unitstride_sbrr_C2R_dirReg
; %bb.0:
	s_load_b128 s[8:11], s[0:1], 0x0
	v_mul_u32_u24_e32 v1, 0x3334, v0
	s_clause 0x1
	s_load_b128 s[4:7], s[0:1], 0x58
	s_load_b128 s[16:19], s[0:1], 0x18
	v_mov_b32_e32 v5, 0
	v_lshrrev_b32_e32 v6, 16, v1
	v_mov_b32_e32 v1, 0
	v_mov_b32_e32 v2, 0
	s_delay_alu instid0(VALU_DEP_3) | instskip(NEXT) | instid1(VALU_DEP_2)
	v_mad_u64_u32 v[3:4], null, s15, 12, v[6:7]
	v_dual_mov_b32 v4, v5 :: v_dual_mov_b32 v95, v2
	s_delay_alu instid0(VALU_DEP_1) | instskip(NEXT) | instid1(VALU_DEP_3)
	v_dual_mov_b32 v94, v1 :: v_dual_mov_b32 v97, v4
	v_mov_b32_e32 v96, v3
	s_waitcnt lgkmcnt(0)
	v_cmp_lt_u64_e64 s2, s[10:11], 2
	s_delay_alu instid0(VALU_DEP_1)
	s_and_b32 vcc_lo, exec_lo, s2
	s_cbranch_vccnz .LBB0_8
; %bb.1:
	s_load_b64 s[2:3], s[0:1], 0x10
	v_dual_mov_b32 v1, 0 :: v_dual_mov_b32 v8, v4
	v_dual_mov_b32 v2, 0 :: v_dual_mov_b32 v7, v3
	s_add_u32 s12, s18, 8
	s_addc_u32 s13, s19, 0
	s_add_u32 s14, s16, 8
	s_delay_alu instid0(VALU_DEP_1)
	v_dual_mov_b32 v95, v2 :: v_dual_mov_b32 v94, v1
	s_addc_u32 s15, s17, 0
	s_mov_b64 s[22:23], 1
	s_waitcnt lgkmcnt(0)
	s_add_u32 s20, s2, 8
	s_addc_u32 s21, s3, 0
.LBB0_2:                                ; =>This Inner Loop Header: Depth=1
	s_load_b64 s[24:25], s[20:21], 0x0
                                        ; implicit-def: $vgpr96_vgpr97
	s_mov_b32 s2, exec_lo
	s_waitcnt lgkmcnt(0)
	v_or_b32_e32 v6, s25, v8
	s_delay_alu instid0(VALU_DEP_1)
	v_cmpx_ne_u64_e32 0, v[5:6]
	s_xor_b32 s3, exec_lo, s2
	s_cbranch_execz .LBB0_4
; %bb.3:                                ;   in Loop: Header=BB0_2 Depth=1
	v_cvt_f32_u32_e32 v4, s24
	v_cvt_f32_u32_e32 v6, s25
	s_sub_u32 s2, 0, s24
	s_subb_u32 s26, 0, s25
	s_delay_alu instid0(VALU_DEP_1) | instskip(NEXT) | instid1(VALU_DEP_1)
	v_fmac_f32_e32 v4, 0x4f800000, v6
	v_rcp_f32_e32 v4, v4
	s_waitcnt_depctr 0xfff
	v_mul_f32_e32 v4, 0x5f7ffffc, v4
	s_delay_alu instid0(VALU_DEP_1) | instskip(NEXT) | instid1(VALU_DEP_1)
	v_mul_f32_e32 v6, 0x2f800000, v4
	v_trunc_f32_e32 v6, v6
	s_delay_alu instid0(VALU_DEP_1) | instskip(SKIP_1) | instid1(VALU_DEP_2)
	v_fmac_f32_e32 v4, 0xcf800000, v6
	v_cvt_u32_f32_e32 v6, v6
	v_cvt_u32_f32_e32 v4, v4
	s_delay_alu instid0(VALU_DEP_2) | instskip(NEXT) | instid1(VALU_DEP_2)
	v_mul_lo_u32 v9, s2, v6
	v_mul_hi_u32 v10, s2, v4
	v_mul_lo_u32 v11, s26, v4
	s_delay_alu instid0(VALU_DEP_2) | instskip(SKIP_1) | instid1(VALU_DEP_2)
	v_add_nc_u32_e32 v9, v10, v9
	v_mul_lo_u32 v10, s2, v4
	v_add_nc_u32_e32 v9, v9, v11
	s_delay_alu instid0(VALU_DEP_2) | instskip(NEXT) | instid1(VALU_DEP_2)
	v_mul_hi_u32 v11, v4, v10
	v_mul_lo_u32 v12, v4, v9
	v_mul_hi_u32 v13, v4, v9
	v_mul_hi_u32 v14, v6, v10
	v_mul_lo_u32 v10, v6, v10
	v_mul_hi_u32 v15, v6, v9
	v_mul_lo_u32 v9, v6, v9
	v_add_co_u32 v11, vcc_lo, v11, v12
	v_add_co_ci_u32_e32 v12, vcc_lo, 0, v13, vcc_lo
	s_delay_alu instid0(VALU_DEP_2) | instskip(NEXT) | instid1(VALU_DEP_2)
	v_add_co_u32 v10, vcc_lo, v11, v10
	v_add_co_ci_u32_e32 v10, vcc_lo, v12, v14, vcc_lo
	v_add_co_ci_u32_e32 v11, vcc_lo, 0, v15, vcc_lo
	s_delay_alu instid0(VALU_DEP_2) | instskip(NEXT) | instid1(VALU_DEP_2)
	v_add_co_u32 v9, vcc_lo, v10, v9
	v_add_co_ci_u32_e32 v10, vcc_lo, 0, v11, vcc_lo
	s_delay_alu instid0(VALU_DEP_2) | instskip(NEXT) | instid1(VALU_DEP_2)
	v_add_co_u32 v4, vcc_lo, v4, v9
	v_add_co_ci_u32_e32 v6, vcc_lo, v6, v10, vcc_lo
	s_delay_alu instid0(VALU_DEP_2) | instskip(SKIP_1) | instid1(VALU_DEP_3)
	v_mul_hi_u32 v9, s2, v4
	v_mul_lo_u32 v11, s26, v4
	v_mul_lo_u32 v10, s2, v6
	s_delay_alu instid0(VALU_DEP_1) | instskip(SKIP_1) | instid1(VALU_DEP_2)
	v_add_nc_u32_e32 v9, v9, v10
	v_mul_lo_u32 v10, s2, v4
	v_add_nc_u32_e32 v9, v9, v11
	s_delay_alu instid0(VALU_DEP_2) | instskip(NEXT) | instid1(VALU_DEP_2)
	v_mul_hi_u32 v11, v4, v10
	v_mul_lo_u32 v12, v4, v9
	v_mul_hi_u32 v13, v4, v9
	v_mul_hi_u32 v14, v6, v10
	v_mul_lo_u32 v10, v6, v10
	v_mul_hi_u32 v15, v6, v9
	v_mul_lo_u32 v9, v6, v9
	v_add_co_u32 v11, vcc_lo, v11, v12
	v_add_co_ci_u32_e32 v12, vcc_lo, 0, v13, vcc_lo
	s_delay_alu instid0(VALU_DEP_2) | instskip(NEXT) | instid1(VALU_DEP_2)
	v_add_co_u32 v10, vcc_lo, v11, v10
	v_add_co_ci_u32_e32 v10, vcc_lo, v12, v14, vcc_lo
	v_add_co_ci_u32_e32 v11, vcc_lo, 0, v15, vcc_lo
	s_delay_alu instid0(VALU_DEP_2) | instskip(NEXT) | instid1(VALU_DEP_2)
	v_add_co_u32 v9, vcc_lo, v10, v9
	v_add_co_ci_u32_e32 v10, vcc_lo, 0, v11, vcc_lo
	s_delay_alu instid0(VALU_DEP_2) | instskip(NEXT) | instid1(VALU_DEP_2)
	v_add_co_u32 v4, vcc_lo, v4, v9
	v_add_co_ci_u32_e32 v6, vcc_lo, v6, v10, vcc_lo
	s_delay_alu instid0(VALU_DEP_2) | instskip(SKIP_1) | instid1(VALU_DEP_3)
	v_mul_hi_u32 v15, v7, v4
	v_mad_u64_u32 v[11:12], null, v8, v4, 0
	v_mad_u64_u32 v[9:10], null, v7, v6, 0
	;; [unrolled: 1-line block ×3, first 2 shown]
	s_delay_alu instid0(VALU_DEP_2) | instskip(NEXT) | instid1(VALU_DEP_3)
	v_add_co_u32 v4, vcc_lo, v15, v9
	v_add_co_ci_u32_e32 v6, vcc_lo, 0, v10, vcc_lo
	s_delay_alu instid0(VALU_DEP_2) | instskip(NEXT) | instid1(VALU_DEP_2)
	v_add_co_u32 v4, vcc_lo, v4, v11
	v_add_co_ci_u32_e32 v4, vcc_lo, v6, v12, vcc_lo
	v_add_co_ci_u32_e32 v6, vcc_lo, 0, v14, vcc_lo
	s_delay_alu instid0(VALU_DEP_2) | instskip(NEXT) | instid1(VALU_DEP_2)
	v_add_co_u32 v4, vcc_lo, v4, v13
	v_add_co_ci_u32_e32 v6, vcc_lo, 0, v6, vcc_lo
	s_delay_alu instid0(VALU_DEP_2) | instskip(SKIP_1) | instid1(VALU_DEP_3)
	v_mul_lo_u32 v11, s25, v4
	v_mad_u64_u32 v[9:10], null, s24, v4, 0
	v_mul_lo_u32 v12, s24, v6
	s_delay_alu instid0(VALU_DEP_2) | instskip(NEXT) | instid1(VALU_DEP_2)
	v_sub_co_u32 v9, vcc_lo, v7, v9
	v_add3_u32 v10, v10, v12, v11
	s_delay_alu instid0(VALU_DEP_1) | instskip(NEXT) | instid1(VALU_DEP_1)
	v_sub_nc_u32_e32 v11, v8, v10
	v_subrev_co_ci_u32_e64 v11, s2, s25, v11, vcc_lo
	v_add_co_u32 v12, s2, v4, 2
	s_delay_alu instid0(VALU_DEP_1) | instskip(SKIP_3) | instid1(VALU_DEP_3)
	v_add_co_ci_u32_e64 v13, s2, 0, v6, s2
	v_sub_co_u32 v14, s2, v9, s24
	v_sub_co_ci_u32_e32 v10, vcc_lo, v8, v10, vcc_lo
	v_subrev_co_ci_u32_e64 v11, s2, 0, v11, s2
	v_cmp_le_u32_e32 vcc_lo, s24, v14
	s_delay_alu instid0(VALU_DEP_3) | instskip(SKIP_1) | instid1(VALU_DEP_4)
	v_cmp_eq_u32_e64 s2, s25, v10
	v_cndmask_b32_e64 v14, 0, -1, vcc_lo
	v_cmp_le_u32_e32 vcc_lo, s25, v11
	v_cndmask_b32_e64 v15, 0, -1, vcc_lo
	v_cmp_le_u32_e32 vcc_lo, s24, v9
	;; [unrolled: 2-line block ×3, first 2 shown]
	v_cndmask_b32_e64 v16, 0, -1, vcc_lo
	v_cmp_eq_u32_e32 vcc_lo, s25, v11
	s_delay_alu instid0(VALU_DEP_2) | instskip(SKIP_3) | instid1(VALU_DEP_3)
	v_cndmask_b32_e64 v9, v16, v9, s2
	v_cndmask_b32_e32 v11, v15, v14, vcc_lo
	v_add_co_u32 v14, vcc_lo, v4, 1
	v_add_co_ci_u32_e32 v15, vcc_lo, 0, v6, vcc_lo
	v_cmp_ne_u32_e32 vcc_lo, 0, v11
	s_delay_alu instid0(VALU_DEP_2) | instskip(SKIP_1) | instid1(VALU_DEP_2)
	v_dual_cndmask_b32 v10, v15, v13 :: v_dual_cndmask_b32 v11, v14, v12
	v_cmp_ne_u32_e32 vcc_lo, 0, v9
	v_dual_cndmask_b32 v97, v6, v10 :: v_dual_cndmask_b32 v96, v4, v11
.LBB0_4:                                ;   in Loop: Header=BB0_2 Depth=1
	s_and_not1_saveexec_b32 s2, s3
	s_cbranch_execz .LBB0_6
; %bb.5:                                ;   in Loop: Header=BB0_2 Depth=1
	v_cvt_f32_u32_e32 v4, s24
	s_sub_i32 s3, 0, s24
	v_mov_b32_e32 v97, v5
	s_delay_alu instid0(VALU_DEP_2) | instskip(SKIP_2) | instid1(VALU_DEP_1)
	v_rcp_iflag_f32_e32 v4, v4
	s_waitcnt_depctr 0xfff
	v_mul_f32_e32 v4, 0x4f7ffffe, v4
	v_cvt_u32_f32_e32 v4, v4
	s_delay_alu instid0(VALU_DEP_1) | instskip(NEXT) | instid1(VALU_DEP_1)
	v_mul_lo_u32 v6, s3, v4
	v_mul_hi_u32 v6, v4, v6
	s_delay_alu instid0(VALU_DEP_1) | instskip(NEXT) | instid1(VALU_DEP_1)
	v_add_nc_u32_e32 v4, v4, v6
	v_mul_hi_u32 v4, v7, v4
	s_delay_alu instid0(VALU_DEP_1) | instskip(NEXT) | instid1(VALU_DEP_1)
	v_mul_lo_u32 v6, v4, s24
	v_sub_nc_u32_e32 v6, v7, v6
	s_delay_alu instid0(VALU_DEP_1) | instskip(SKIP_1) | instid1(VALU_DEP_2)
	v_subrev_nc_u32_e32 v10, s24, v6
	v_cmp_le_u32_e32 vcc_lo, s24, v6
	v_dual_cndmask_b32 v6, v6, v10 :: v_dual_add_nc_u32 v9, 1, v4
	s_delay_alu instid0(VALU_DEP_1) | instskip(NEXT) | instid1(VALU_DEP_2)
	v_cndmask_b32_e32 v4, v4, v9, vcc_lo
	v_cmp_le_u32_e32 vcc_lo, s24, v6
	s_delay_alu instid0(VALU_DEP_2) | instskip(NEXT) | instid1(VALU_DEP_1)
	v_add_nc_u32_e32 v9, 1, v4
	v_cndmask_b32_e32 v96, v4, v9, vcc_lo
.LBB0_6:                                ;   in Loop: Header=BB0_2 Depth=1
	s_or_b32 exec_lo, exec_lo, s2
	s_delay_alu instid0(VALU_DEP_1) | instskip(NEXT) | instid1(VALU_DEP_2)
	v_mul_lo_u32 v4, v97, s24
	v_mul_lo_u32 v6, v96, s25
	s_load_b64 s[2:3], s[14:15], 0x0
	v_mad_u64_u32 v[9:10], null, v96, s24, 0
	s_load_b64 s[24:25], s[12:13], 0x0
	s_add_u32 s22, s22, 1
	s_addc_u32 s23, s23, 0
	s_add_u32 s12, s12, 8
	s_addc_u32 s13, s13, 0
	s_add_u32 s14, s14, 8
	s_delay_alu instid0(VALU_DEP_1) | instskip(SKIP_3) | instid1(VALU_DEP_2)
	v_add3_u32 v4, v10, v6, v4
	v_sub_co_u32 v10, vcc_lo, v7, v9
	s_addc_u32 s15, s15, 0
	s_add_u32 s20, s20, 8
	v_sub_co_ci_u32_e32 v4, vcc_lo, v8, v4, vcc_lo
	s_addc_u32 s21, s21, 0
	s_waitcnt lgkmcnt(0)
	s_delay_alu instid0(VALU_DEP_1)
	v_mul_lo_u32 v11, s2, v4
	v_mul_lo_u32 v12, s3, v10
	v_mad_u64_u32 v[6:7], null, s2, v10, v[1:2]
	v_mul_lo_u32 v4, s24, v4
	v_mul_lo_u32 v13, s25, v10
	v_mad_u64_u32 v[8:9], null, s24, v10, v[94:95]
	v_cmp_ge_u64_e64 s2, s[22:23], s[10:11]
	v_add3_u32 v2, v12, v7, v11
	s_delay_alu instid0(VALU_DEP_3) | instskip(NEXT) | instid1(VALU_DEP_4)
	v_dual_mov_b32 v1, v6 :: v_dual_mov_b32 v94, v8
	v_add3_u32 v95, v13, v9, v4
	s_delay_alu instid0(VALU_DEP_4)
	s_and_b32 vcc_lo, exec_lo, s2
	s_cbranch_vccnz .LBB0_8
; %bb.7:                                ;   in Loop: Header=BB0_2 Depth=1
	v_dual_mov_b32 v7, v96 :: v_dual_mov_b32 v8, v97
	s_branch .LBB0_2
.LBB0_8:
	s_load_b64 s[0:1], s[0:1], 0x28
	v_mul_hi_u32 v4, 0xaaaaaaab, v3
	s_lshl_b64 s[10:11], s[10:11], 3
                                        ; implicit-def: $vgpr92
	s_delay_alu instid0(SALU_CYCLE_1) | instskip(SKIP_1) | instid1(VALU_DEP_1)
	s_add_u32 s2, s18, s10
	s_addc_u32 s3, s19, s11
	v_lshrrev_b32_e32 v4, 3, v4
	s_delay_alu instid0(VALU_DEP_1) | instskip(SKIP_4) | instid1(VALU_DEP_4)
	v_mul_lo_u32 v5, v4, 12
	v_mul_hi_u32 v4, 0x33333334, v0
	s_waitcnt lgkmcnt(0)
	v_cmp_gt_u64_e32 vcc_lo, s[0:1], v[96:97]
	v_cmp_le_u64_e64 s0, s[0:1], v[96:97]
	v_sub_nc_u32_e32 v3, v3, v5
	s_delay_alu instid0(VALU_DEP_2) | instskip(NEXT) | instid1(SALU_CYCLE_1)
	s_and_saveexec_b32 s1, s0
	s_xor_b32 s0, exec_lo, s1
; %bb.9:
	s_delay_alu instid0(VALU_DEP_4) | instskip(NEXT) | instid1(VALU_DEP_1)
	v_mul_u32_u24_e32 v1, 5, v4
                                        ; implicit-def: $vgpr4
	v_sub_nc_u32_e32 v92, v0, v1
                                        ; implicit-def: $vgpr0
                                        ; implicit-def: $vgpr1_vgpr2
; %bb.10:
	s_or_saveexec_b32 s1, s0
	s_load_b64 s[2:3], s[2:3], 0x0
	v_mul_u32_u24_e32 v3, 0x97, v3
	s_delay_alu instid0(VALU_DEP_1)
	v_lshlrev_b32_e32 v240, 4, v3
	s_xor_b32 exec_lo, exec_lo, s1
	s_cbranch_execz .LBB0_14
; %bb.11:
	s_add_u32 s10, s16, s10
	s_addc_u32 s11, s17, s11
	v_lshlrev_b64 v[1:2], 4, v[1:2]
	s_load_b64 s[10:11], s[10:11], 0x0
	s_waitcnt lgkmcnt(0)
	v_mul_lo_u32 v7, s11, v96
	v_mul_lo_u32 v8, s10, v97
	v_mad_u64_u32 v[5:6], null, s10, v96, 0
	s_delay_alu instid0(VALU_DEP_1) | instskip(SKIP_1) | instid1(VALU_DEP_2)
	v_add3_u32 v6, v6, v8, v7
	v_mul_u32_u24_e32 v7, 5, v4
	v_lshlrev_b64 v[4:5], 4, v[5:6]
	s_delay_alu instid0(VALU_DEP_2) | instskip(NEXT) | instid1(VALU_DEP_1)
	v_sub_nc_u32_e32 v92, v0, v7
	v_lshlrev_b32_e32 v93, 4, v92
	s_delay_alu instid0(VALU_DEP_3) | instskip(NEXT) | instid1(VALU_DEP_1)
	v_add_co_u32 v0, s0, s4, v4
	v_add_co_ci_u32_e64 v4, s0, s5, v5, s0
	s_delay_alu instid0(VALU_DEP_2) | instskip(NEXT) | instid1(VALU_DEP_1)
	v_add_co_u32 v0, s0, v0, v1
	v_add_co_ci_u32_e64 v1, s0, v4, v2, s0
	v_add3_u32 v2, 0, v240, v93
	s_delay_alu instid0(VALU_DEP_3) | instskip(NEXT) | instid1(VALU_DEP_1)
	v_add_co_u32 v126, s0, v0, v93
	v_add_co_ci_u32_e64 v127, s0, 0, v1, s0
	s_clause 0x1d
	global_load_b128 v[4:7], v[126:127], off
	global_load_b128 v[8:11], v[126:127], off offset:80
	global_load_b128 v[12:15], v[126:127], off offset:160
	;; [unrolled: 1-line block ×29, first 2 shown]
	v_cmp_eq_u32_e64 s0, 4, v92
	s_waitcnt vmcnt(29)
	ds_store_b128 v2, v[4:7]
	s_waitcnt vmcnt(28)
	ds_store_b128 v2, v[8:11] offset:80
	s_waitcnt vmcnt(27)
	ds_store_b128 v2, v[12:15] offset:160
	;; [unrolled: 2-line block ×29, first 2 shown]
	s_and_saveexec_b32 s4, s0
	s_cbranch_execz .LBB0_13
; %bb.12:
	global_load_b128 v[4:7], v[0:1], off offset:2400
	v_mov_b32_e32 v92, 4
	s_waitcnt vmcnt(0)
	ds_store_b128 v2, v[4:7] offset:2336
.LBB0_13:
	s_or_b32 exec_lo, exec_lo, s4
.LBB0_14:
	s_delay_alu instid0(SALU_CYCLE_1)
	s_or_b32 exec_lo, exec_lo, s1
	v_lshl_add_u32 v238, v3, 4, 0
	v_lshlrev_b32_e32 v10, 4, v92
	s_waitcnt lgkmcnt(0)
	s_barrier
	buffer_gl0_inv
	s_mov_b32 s1, exec_lo
	v_add_nc_u32_e32 v239, v238, v10
	v_sub_nc_u32_e32 v11, v238, v10
                                        ; implicit-def: $vgpr4_vgpr5
	ds_load_b64 v[6:7], v239
	ds_load_b64 v[8:9], v11 offset:2400
	s_waitcnt lgkmcnt(0)
	v_add_f64 v[0:1], v[6:7], v[8:9]
	v_add_f64 v[2:3], v[6:7], -v[8:9]
	v_cmpx_ne_u32_e32 0, v92
	s_xor_b32 s1, exec_lo, s1
	s_cbranch_execz .LBB0_16
; %bb.15:
	v_mov_b32_e32 v93, 0
	v_add_f64 v[14:15], v[6:7], v[8:9]
	v_add_f64 v[16:17], v[6:7], -v[8:9]
	s_delay_alu instid0(VALU_DEP_3) | instskip(NEXT) | instid1(VALU_DEP_1)
	v_lshlrev_b64 v[0:1], 4, v[92:93]
	v_add_co_u32 v0, s0, s8, v0
	s_delay_alu instid0(VALU_DEP_1)
	v_add_co_ci_u32_e64 v1, s0, s9, v1, s0
	global_load_b128 v[2:5], v[0:1], off offset:2240
	ds_load_b64 v[0:1], v11 offset:2408
	ds_load_b64 v[12:13], v239 offset:8
	s_waitcnt lgkmcnt(0)
	v_add_f64 v[6:7], v[0:1], v[12:13]
	v_add_f64 v[0:1], v[12:13], -v[0:1]
	s_waitcnt vmcnt(0)
	v_fma_f64 v[8:9], v[16:17], v[4:5], v[14:15]
	v_fma_f64 v[12:13], -v[16:17], v[4:5], v[14:15]
	s_delay_alu instid0(VALU_DEP_3) | instskip(SKIP_1) | instid1(VALU_DEP_4)
	v_fma_f64 v[14:15], v[6:7], v[4:5], -v[0:1]
	v_fma_f64 v[4:5], v[6:7], v[4:5], v[0:1]
	v_fma_f64 v[0:1], -v[6:7], v[2:3], v[8:9]
	s_delay_alu instid0(VALU_DEP_4) | instskip(NEXT) | instid1(VALU_DEP_4)
	v_fma_f64 v[6:7], v[6:7], v[2:3], v[12:13]
	v_fma_f64 v[8:9], v[16:17], v[2:3], v[14:15]
	s_delay_alu instid0(VALU_DEP_4)
	v_fma_f64 v[2:3], v[16:17], v[2:3], v[4:5]
	v_dual_mov_b32 v4, v92 :: v_dual_mov_b32 v5, v93
	ds_store_b128 v11, v[6:9] offset:2400
.LBB0_16:
	s_and_not1_saveexec_b32 s0, s1
	s_cbranch_execz .LBB0_18
; %bb.17:
	ds_load_b128 v[4:7], v238 offset:1200
	s_waitcnt lgkmcnt(0)
	v_add_f64 v[12:13], v[4:5], v[4:5]
	v_mul_f64 v[14:15], v[6:7], -2.0
	v_mov_b32_e32 v4, 0
	v_mov_b32_e32 v5, 0
	ds_store_b128 v238, v[12:15] offset:1200
.LBB0_18:
	s_or_b32 exec_lo, exec_lo, s0
	v_lshlrev_b64 v[4:5], 4, v[4:5]
	s_add_u32 s0, s8, 0x8c0
	s_addc_u32 s1, s9, 0
	v_add3_u32 v93, 0, v10, v240
	s_mov_b32 s14, 0x134454ff
	s_mov_b32 s15, 0x3fee6f0e
	v_add_co_u32 v4, s0, s0, v4
	s_delay_alu instid0(VALU_DEP_1)
	v_add_co_ci_u32_e64 v5, s0, s1, v5, s0
	s_mov_b32 s17, 0xbfee6f0e
	s_mov_b32 s16, s14
	;; [unrolled: 1-line block ×3, first 2 shown]
	s_clause 0x1
	global_load_b128 v[6:9], v[4:5], off offset:80
	global_load_b128 v[12:15], v[4:5], off offset:160
	ds_store_b128 v239, v[0:3]
	ds_load_b128 v[0:3], v239 offset:80
	ds_load_b128 v[16:19], v11 offset:2320
	global_load_b128 v[20:23], v[4:5], off offset:240
	s_mov_b32 s11, 0x3fe2cf23
	s_mov_b32 s13, 0xbfe2cf23
	;; [unrolled: 1-line block ×7, first 2 shown]
	s_waitcnt lgkmcnt(0)
	v_add_f64 v[24:25], v[0:1], v[16:17]
	v_add_f64 v[26:27], v[18:19], v[2:3]
	v_add_f64 v[28:29], v[0:1], -v[16:17]
	v_add_f64 v[0:1], v[2:3], -v[18:19]
	s_waitcnt vmcnt(2)
	s_delay_alu instid0(VALU_DEP_2) | instskip(NEXT) | instid1(VALU_DEP_2)
	v_fma_f64 v[2:3], v[28:29], v[8:9], v[24:25]
	v_fma_f64 v[16:17], v[26:27], v[8:9], v[0:1]
	v_fma_f64 v[18:19], -v[28:29], v[8:9], v[24:25]
	v_fma_f64 v[8:9], v[26:27], v[8:9], -v[0:1]
	s_delay_alu instid0(VALU_DEP_4) | instskip(NEXT) | instid1(VALU_DEP_4)
	v_fma_f64 v[0:1], -v[26:27], v[6:7], v[2:3]
	v_fma_f64 v[2:3], v[28:29], v[6:7], v[16:17]
	s_delay_alu instid0(VALU_DEP_4) | instskip(NEXT) | instid1(VALU_DEP_4)
	v_fma_f64 v[16:17], v[26:27], v[6:7], v[18:19]
	v_fma_f64 v[18:19], v[28:29], v[6:7], v[8:9]
	ds_store_b128 v239, v[0:3] offset:80
	ds_store_b128 v11, v[16:19] offset:2320
	ds_load_b128 v[0:3], v239 offset:160
	ds_load_b128 v[6:9], v11 offset:2240
	global_load_b128 v[16:19], v[4:5], off offset:320
	s_waitcnt lgkmcnt(0)
	v_add_f64 v[24:25], v[0:1], v[6:7]
	v_add_f64 v[26:27], v[8:9], v[2:3]
	v_add_f64 v[28:29], v[0:1], -v[6:7]
	v_add_f64 v[0:1], v[2:3], -v[8:9]
	s_waitcnt vmcnt(2)
	s_delay_alu instid0(VALU_DEP_2) | instskip(NEXT) | instid1(VALU_DEP_2)
	v_fma_f64 v[2:3], v[28:29], v[14:15], v[24:25]
	v_fma_f64 v[6:7], v[26:27], v[14:15], v[0:1]
	v_fma_f64 v[8:9], -v[28:29], v[14:15], v[24:25]
	v_fma_f64 v[14:15], v[26:27], v[14:15], -v[0:1]
	s_delay_alu instid0(VALU_DEP_4) | instskip(NEXT) | instid1(VALU_DEP_4)
	v_fma_f64 v[0:1], -v[26:27], v[12:13], v[2:3]
	v_fma_f64 v[2:3], v[28:29], v[12:13], v[6:7]
	s_delay_alu instid0(VALU_DEP_4) | instskip(NEXT) | instid1(VALU_DEP_4)
	v_fma_f64 v[6:7], v[26:27], v[12:13], v[8:9]
	v_fma_f64 v[8:9], v[28:29], v[12:13], v[14:15]
	ds_store_b128 v239, v[0:3] offset:160
	ds_store_b128 v11, v[6:9] offset:2240
	ds_load_b128 v[0:3], v239 offset:240
	ds_load_b128 v[6:9], v11 offset:2160
	global_load_b128 v[12:15], v[4:5], off offset:400
	;; [unrolled: 22-line block ×11, first 2 shown]
	s_waitcnt lgkmcnt(0)
	v_add_f64 v[4:5], v[0:1], v[6:7]
	v_add_f64 v[24:25], v[8:9], v[2:3]
	v_add_f64 v[6:7], v[0:1], -v[6:7]
	v_add_f64 v[0:1], v[2:3], -v[8:9]
	s_waitcnt vmcnt(2)
	s_delay_alu instid0(VALU_DEP_2) | instskip(NEXT) | instid1(VALU_DEP_2)
	v_fma_f64 v[2:3], v[6:7], v[22:23], v[4:5]
	v_fma_f64 v[8:9], v[24:25], v[22:23], v[0:1]
	v_fma_f64 v[4:5], -v[6:7], v[22:23], v[4:5]
	v_fma_f64 v[22:23], v[24:25], v[22:23], -v[0:1]
	s_delay_alu instid0(VALU_DEP_4) | instskip(NEXT) | instid1(VALU_DEP_4)
	v_fma_f64 v[0:1], -v[24:25], v[20:21], v[2:3]
	v_fma_f64 v[2:3], v[6:7], v[20:21], v[8:9]
	s_delay_alu instid0(VALU_DEP_4) | instskip(NEXT) | instid1(VALU_DEP_4)
	v_fma_f64 v[4:5], v[24:25], v[20:21], v[4:5]
	v_fma_f64 v[6:7], v[6:7], v[20:21], v[22:23]
	ds_store_b128 v239, v[0:3] offset:960
	ds_store_b128 v11, v[4:7] offset:1440
	ds_load_b128 v[0:3], v239 offset:1040
	ds_load_b128 v[4:7], v11 offset:1360
	s_waitcnt lgkmcnt(0)
	v_add_f64 v[8:9], v[0:1], v[4:5]
	v_add_f64 v[20:21], v[6:7], v[2:3]
	v_add_f64 v[22:23], v[0:1], -v[4:5]
	v_add_f64 v[0:1], v[2:3], -v[6:7]
	s_waitcnt vmcnt(1)
	s_delay_alu instid0(VALU_DEP_2) | instskip(NEXT) | instid1(VALU_DEP_2)
	v_fma_f64 v[2:3], v[22:23], v[18:19], v[8:9]
	v_fma_f64 v[4:5], v[20:21], v[18:19], v[0:1]
	v_fma_f64 v[6:7], -v[22:23], v[18:19], v[8:9]
	v_fma_f64 v[8:9], v[20:21], v[18:19], -v[0:1]
	s_delay_alu instid0(VALU_DEP_4) | instskip(NEXT) | instid1(VALU_DEP_4)
	v_fma_f64 v[0:1], -v[20:21], v[16:17], v[2:3]
	v_fma_f64 v[2:3], v[22:23], v[16:17], v[4:5]
	s_delay_alu instid0(VALU_DEP_4) | instskip(NEXT) | instid1(VALU_DEP_4)
	v_fma_f64 v[4:5], v[20:21], v[16:17], v[6:7]
	v_fma_f64 v[6:7], v[22:23], v[16:17], v[8:9]
	ds_store_b128 v239, v[0:3] offset:1040
	ds_store_b128 v11, v[4:7] offset:1360
	ds_load_b128 v[0:3], v239 offset:1120
	ds_load_b128 v[4:7], v11 offset:1280
	s_waitcnt lgkmcnt(0)
	v_add_f64 v[8:9], v[0:1], v[4:5]
	v_add_f64 v[16:17], v[6:7], v[2:3]
	v_add_f64 v[18:19], v[0:1], -v[4:5]
	v_add_f64 v[0:1], v[2:3], -v[6:7]
	s_waitcnt vmcnt(0)
	s_delay_alu instid0(VALU_DEP_2) | instskip(NEXT) | instid1(VALU_DEP_2)
	v_fma_f64 v[2:3], v[18:19], v[14:15], v[8:9]
	v_fma_f64 v[4:5], v[16:17], v[14:15], v[0:1]
	v_fma_f64 v[6:7], -v[18:19], v[14:15], v[8:9]
	v_fma_f64 v[8:9], v[16:17], v[14:15], -v[0:1]
	s_delay_alu instid0(VALU_DEP_4) | instskip(NEXT) | instid1(VALU_DEP_4)
	v_fma_f64 v[0:1], -v[16:17], v[12:13], v[2:3]
	v_fma_f64 v[2:3], v[18:19], v[12:13], v[4:5]
	s_delay_alu instid0(VALU_DEP_4) | instskip(NEXT) | instid1(VALU_DEP_4)
	v_fma_f64 v[4:5], v[16:17], v[12:13], v[6:7]
	v_fma_f64 v[6:7], v[18:19], v[12:13], v[8:9]
	ds_store_b128 v239, v[0:3] offset:1120
	ds_store_b128 v11, v[4:7] offset:1280
	s_waitcnt lgkmcnt(0)
	s_barrier
	buffer_gl0_inv
	s_barrier
	buffer_gl0_inv
	ds_load_b128 v[48:51], v239
	ds_load_b128 v[52:55], v93 offset:80
	ds_load_b128 v[80:83], v93 offset:480
	;; [unrolled: 1-line block ×29, first 2 shown]
	s_waitcnt lgkmcnt(27)
	v_add_f64 v[116:117], v[48:49], v[80:81]
	v_add_f64 v[118:119], v[50:51], v[82:83]
	s_waitcnt lgkmcnt(19)
	v_add_f64 v[120:121], v[64:65], v[108:109]
	v_add_f64 v[122:123], v[84:85], v[8:9]
	s_waitcnt lgkmcnt(17)
	v_add_f64 v[180:181], v[82:83], -v[2:3]
	v_add_f64 v[98:99], v[86:87], -v[10:11]
	v_add_f64 v[124:125], v[80:81], v[0:1]
	v_add_f64 v[126:127], v[86:87], v[10:11]
	v_add_f64 v[182:183], v[82:83], -v[86:87]
	v_add_f64 v[220:221], v[86:87], -v[82:83]
	v_add_f64 v[128:129], v[82:83], v[2:3]
	v_add_f64 v[130:131], v[66:67], v[110:111]
	s_waitcnt lgkmcnt(13)
	v_add_f64 v[138:139], v[90:91], v[30:31]
	v_add_f64 v[140:141], v[52:53], v[76:77]
	;; [unrolled: 1-line block ×4, first 2 shown]
	v_add_f64 v[196:197], v[76:77], -v[72:73]
	v_add_f64 v[208:209], v[72:73], -v[76:77]
	v_add_f64 v[162:163], v[76:77], v[4:5]
	v_add_f64 v[82:83], v[76:77], -v[4:5]
	v_add_f64 v[164:165], v[78:79], v[6:7]
	s_waitcnt lgkmcnt(7)
	v_add_f64 v[172:173], v[150:151], v[132:133]
	v_add_f64 v[174:175], v[152:153], v[134:135]
	s_waitcnt lgkmcnt(3)
	v_add_f64 v[184:185], v[154:155], v[44:45]
	;; [unrolled: 3-line block ×3, first 2 shown]
	v_add_f64 v[192:193], v[56:57], v[60:61]
	v_add_f64 v[234:235], v[70:71], v[26:27]
	;; [unrolled: 1-line block ×4, first 2 shown]
	v_add_f64 v[144:145], v[80:81], -v[84:85]
	v_add_f64 v[170:171], v[0:1], -v[8:9]
	;; [unrolled: 1-line block ×5, first 2 shown]
	v_add_f64 v[136:137], v[88:89], v[28:29]
	v_add_f64 v[104:105], v[90:91], -v[30:31]
	v_add_f64 v[226:227], v[108:109], -v[88:89]
	v_add_f64 v[76:77], v[116:117], v[84:85]
	v_add_f64 v[228:229], v[88:89], -v[108:109]
	v_add_f64 v[106:107], v[88:89], -v[28:29]
	;; [unrolled: 1-line block ×4, first 2 shown]
	scratch_store_b64 off, v[98:99], off    ; 8-byte Folded Spill
	v_add_f64 v[112:113], v[110:111], -v[22:23]
	v_add_f64 v[146:147], v[108:109], v[20:21]
	v_add_f64 v[114:115], v[108:109], -v[20:21]
	v_add_f64 v[148:149], v[110:111], v[22:23]
	;; [unrolled: 2-line block ×3, first 2 shown]
	v_add_f64 v[108:109], v[72:73], -v[12:13]
	v_add_f64 v[198:199], v[78:79], -v[74:75]
	v_add_f64 v[210:211], v[74:75], -v[78:79]
	v_add_f64 v[110:111], v[78:79], -v[6:7]
	v_add_f64 v[80:81], v[156:157], -v[46:47]
	v_add_f64 v[212:213], v[132:133], -v[154:155]
	v_add_f64 v[216:217], v[154:155], -v[132:133]
	v_add_f64 v[188:189], v[132:133], v[36:37]
	v_add_f64 v[194:195], v[58:59], v[62:63]
	;; [unrolled: 1-line block ×8, first 2 shown]
	v_fma_f64 v[116:117], v[122:123], -0.5, v[48:49]
	v_fma_f64 v[122:123], v[124:125], -0.5, v[48:49]
	v_fma_f64 v[118:119], v[126:127], -0.5, v[50:51]
	v_fma_f64 v[126:127], v[128:129], -0.5, v[50:51]
	v_add_f64 v[48:49], v[134:135], -v[156:157]
	v_fma_f64 v[130:131], v[138:139], -0.5, v[66:67]
	v_add_f64 v[50:51], v[156:157], -v[134:135]
	v_add_f64 v[72:73], v[132:133], -v[36:37]
	;; [unrolled: 1-line block ×3, first 2 shown]
	v_fma_f64 v[120:121], v[158:159], -0.5, v[52:53]
	v_fma_f64 v[132:133], v[162:163], -0.5, v[52:53]
	scratch_store_b64 off, v[76:77], off offset:8 ; 8-byte Folded Spill
	v_add_f64 v[76:77], v[134:135], -v[38:39]
	v_fma_f64 v[138:139], v[164:165], -0.5, v[54:55]
	v_add_f64 v[172:173], v[172:173], v[154:155]
	v_add_f64 v[174:175], v[174:175], v[156:157]
	v_add_f64 v[52:53], v[62:63], -v[70:71]
	v_fma_f64 v[156:157], v[184:185], -0.5, v[150:151]
	v_fma_f64 v[154:155], v[186:187], -0.5, v[152:153]
	;; [unrolled: 1-line block ×3, first 2 shown]
	v_add_f64 v[184:185], v[70:71], -v[62:63]
	v_add_f64 v[74:75], v[62:63], -v[18:19]
	v_fma_f64 v[134:135], v[234:235], -0.5, v[58:59]
	v_fma_f64 v[152:153], v[241:242], -0.5, v[58:59]
	v_add_f64 v[234:235], v[176:177], -v[204:205]
	v_add_f64 v[186:187], v[192:193], v[68:69]
	v_add_f64 v[190:191], v[204:205], -v[176:177]
	v_add_f64 v[58:59], v[204:205], -v[40:41]
	;; [unrolled: 1-line block ×3, first 2 shown]
	v_add_f64 v[192:193], v[251:252], v[204:205]
	v_add_f64 v[204:205], v[28:29], -v[20:21]
	v_add_f64 v[218:219], v[8:9], -v[0:1]
	;; [unrolled: 1-line block ×4, first 2 shown]
	v_add_f64 v[200:201], v[68:69], v[24:25]
	v_add_f64 v[202:203], v[60:61], v[16:17]
	v_fma_f64 v[136:137], v[136:137], -0.5, v[64:65]
	v_fma_f64 v[146:147], v[146:147], -0.5, v[64:65]
	v_fma_f64 v[148:149], v[148:149], -0.5, v[66:67]
	v_fma_f64 v[124:125], v[160:161], -0.5, v[54:55]
	v_add_f64 v[158:159], v[70:71], -v[26:27]
	v_add_f64 v[160:161], v[60:61], -v[68:69]
	;; [unrolled: 1-line block ×3, first 2 shown]
	v_fma_f64 v[162:163], v[188:189], -0.5, v[150:151]
	v_add_f64 v[65:66], v[68:69], -v[24:25]
	v_add_f64 v[188:189], v[194:195], v[70:71]
	v_add_f64 v[69:70], v[144:145], v[170:171]
	;; [unrolled: 1-line block ×3, first 2 shown]
	v_add_f64 v[222:223], v[4:5], -v[12:13]
	v_add_f64 v[236:237], v[20:21], -v[28:29]
	v_add_f64 v[253:254], v[168:169], v[178:179]
	s_waitcnt lgkmcnt(0)
	v_add_f64 v[247:248], v[176:177], v[32:33]
	v_add_f64 v[249:250], v[178:179], v[34:35]
	v_add_f64 v[54:55], v[60:61], -v[16:17]
	v_add_f64 v[60:61], v[178:179], -v[34:35]
	;; [unrolled: 1-line block ×3, first 2 shown]
	v_add_f64 v[245:246], v[206:207], v[42:43]
	v_fma_f64 v[243:244], v[243:244], -0.5, v[166:167]
	v_add_f64 v[10:11], v[86:87], v[10:11]
	v_add_f64 v[28:29], v[88:89], v[28:29]
	v_fma_f64 v[88:89], v[114:115], s[16:17], v[130:131]
	v_fma_f64 v[130:131], v[114:115], s[14:15], v[130:131]
	v_add_f64 v[170:171], v[230:231], v[62:63]
	v_add_f64 v[62:63], v[36:37], -v[44:45]
	v_add_f64 v[204:205], v[228:229], v[204:205]
	v_add_f64 v[228:229], v[14:15], -v[6:7]
	v_add_f64 v[230:231], v[44:45], -v[36:37]
	v_add_f64 v[176:177], v[220:221], v[224:225]
	v_fma_f64 v[128:129], v[200:201], -0.5, v[56:57]
	v_fma_f64 v[150:151], v[202:203], -0.5, v[56:57]
	v_add_f64 v[202:203], v[178:179], -v[206:207]
	v_add_f64 v[200:201], v[206:207], -v[178:179]
	v_add_f64 v[178:179], v[214:215], v[218:219]
	v_add_f64 v[220:221], v[12:13], -v[4:5]
	v_add_f64 v[56:57], v[206:207], -v[42:43]
	;; [unrolled: 1-line block ×4, first 2 shown]
	v_add_f64 v[12:13], v[140:141], v[12:13]
	v_fma_f64 v[86:87], v[112:113], s[14:15], v[136:137]
	v_add_f64 v[44:45], v[172:173], v[44:45]
	v_fma_f64 v[172:173], v[104:105], s[16:17], v[146:147]
	v_fma_f64 v[146:147], v[104:105], s[14:15], v[146:147]
	v_add_f64 v[196:197], v[196:197], v[222:223]
	v_add_f64 v[222:223], v[46:47], -v[38:39]
	v_add_f64 v[194:195], v[253:254], v[206:207]
	v_add_f64 v[206:207], v[30:31], -v[22:23]
	;; [unrolled: 2-line block ×3, first 2 shown]
	v_add_f64 v[236:237], v[32:33], -v[40:41]
	v_fma_f64 v[166:167], v[247:248], -0.5, v[166:167]
	v_fma_f64 v[241:242], v[245:246], -0.5, v[168:169]
	;; [unrolled: 1-line block ×3, first 2 shown]
	v_add_f64 v[14:15], v[142:143], v[14:15]
	v_fma_f64 v[142:143], v[106:107], s[14:15], v[148:149]
	v_fma_f64 v[148:149], v[106:107], s[16:17], v[148:149]
	;; [unrolled: 1-line block ×3, first 2 shown]
	v_add_f64 v[46:47], v[174:175], v[46:47]
	v_fma_f64 v[140:141], v[102:103], s[16:17], v[118:119]
	v_fma_f64 v[118:119], v[102:103], s[14:15], v[118:119]
	v_add_f64 v[30:31], v[90:91], v[30:31]
	v_add_f64 v[10:11], v[10:11], v[2:3]
	;; [unrolled: 1-line block ×3, first 2 shown]
	v_add_f64 v[63:64], v[18:19], -v[26:27]
	v_add_f64 v[210:211], v[210:211], v[228:229]
	v_add_f64 v[228:229], v[26:27], -v[18:19]
	v_add_f64 v[26:27], v[188:189], v[26:27]
	v_mul_u32_u24_e32 v62, 10, v92
	v_fma_f64 v[188:189], v[72:73], s[16:17], v[154:155]
	v_fma_f64 v[154:155], v[72:73], s[14:15], v[154:155]
	;; [unrolled: 1-line block ×4, first 2 shown]
	v_add_f64 v[208:209], v[208:209], v[220:221]
	v_add_f64 v[20:21], v[28:29], v[20:21]
	;; [unrolled: 1-line block ×4, first 2 shown]
	v_add_f64 v[230:231], v[40:41], -v[32:33]
	v_add_f64 v[40:41], v[192:193], v[40:41]
	v_add_f64 v[48:49], v[202:203], v[224:225]
	v_fma_f64 v[202:203], v[98:99], s[16:17], v[132:133]
	v_fma_f64 v[224:225], v[108:109], s[14:15], v[138:139]
	;; [unrolled: 1-line block ×3, first 2 shown]
	v_add_f64 v[220:221], v[50:51], v[222:223]
	v_fma_f64 v[138:139], v[108:109], s[16:17], v[138:139]
	v_add_f64 v[206:207], v[232:233], v[206:207]
	v_add_f64 v[232:233], v[16:17], -v[24:25]
	v_add_f64 v[198:199], v[198:199], v[226:227]
	v_add_f64 v[226:227], v[24:25], -v[16:17]
	v_add_f64 v[24:25], v[186:187], v[24:25]
	scratch_load_b64 v[186:187], off, off   ; 8-byte Folded Reload
	v_add_f64 v[234:235], v[234:235], v[236:237]
	v_add_nc_u32_e32 v236, 20, v92
	v_lshlrev_b32_e32 v237, 4, v62
	v_add_f64 v[12:13], v[12:13], v[4:5]
	v_add_f64 v[14:15], v[14:15], v[6:7]
	v_fma_f64 v[4:5], v[58:59], s[14:15], v[168:169]
	v_fma_f64 v[6:7], v[56:57], s[16:17], v[166:167]
	v_fma_f64 v[166:167], v[56:57], s[14:15], v[166:167]
	v_fma_f64 v[168:169], v[58:59], s[16:17], v[168:169]
	v_fma_f64 v[192:193], v[82:83], s[16:17], v[124:125]
	v_fma_f64 v[124:125], v[82:83], s[14:15], v[124:125]
	v_add_f64 v[222:223], v[52:53], v[63:64]
	v_dual_mov_b32 v64, 0 :: v_dual_lshlrev_b32 v63, 2, v92
	v_add_f64 v[52:53], v[184:185], v[228:229]
	scratch_load_b64 v[184:185], off, off offset:8 ; 8-byte Folded Reload
	v_fma_f64 v[2:3], v[67:68], s[16:17], v[241:242]
	v_fma_f64 v[228:229], v[67:68], s[14:15], v[241:242]
	v_add_f64 v[36:37], v[44:45], v[36:37]
	v_fma_f64 v[44:45], v[158:159], s[16:17], v[150:151]
	v_fma_f64 v[150:151], v[158:159], s[14:15], v[150:151]
	v_add_f64 v[26:27], v[26:27], v[18:19]
	;; [unrolled: 3-line block ×3, first 2 shown]
	v_add_f64 v[32:33], v[40:41], v[32:33]
	v_fma_f64 v[40:41], v[106:107], s[12:13], v[88:89]
	v_fma_f64 v[88:89], v[112:113], s[10:11], v[172:173]
	;; [unrolled: 1-line block ×6, first 2 shown]
	v_add_f64 v[38:39], v[46:47], v[38:39]
	v_add_f64 v[216:217], v[160:161], v[232:233]
	v_add_f64 v[232:233], v[42:43], -v[34:35]
	v_lshlrev_b64 v[160:161], 4, v[63:64]
	v_add_f64 v[62:63], v[190:191], v[230:231]
	v_add_f64 v[50:51], v[84:85], v[226:227]
	;; [unrolled: 1-line block ×3, first 2 shown]
	v_fma_f64 v[194:195], v[78:79], s[14:15], v[164:165]
	v_fma_f64 v[164:165], v[78:79], s[16:17], v[164:165]
	;; [unrolled: 1-line block ×5, first 2 shown]
	v_add_f64 v[24:25], v[24:25], v[16:17]
	v_fma_f64 v[16:17], v[104:105], s[10:11], v[86:87]
	v_fma_f64 v[104:105], v[104:105], s[12:13], v[136:137]
	;; [unrolled: 1-line block ×25, first 2 shown]
	v_add_f64 v[2:3], v[10:11], v[22:23]
	v_add_f64 v[6:7], v[10:11], -v[22:23]
	v_add_f64 v[84:85], v[200:201], v[232:233]
	v_fma_f64 v[200:201], v[80:81], s[16:17], v[162:163]
	v_fma_f64 v[162:163], v[80:81], s[14:15], v[162:163]
	v_add_f64 v[10:11], v[14:15], v[38:39]
	v_add_f64 v[34:35], v[42:43], v[34:35]
	v_fma_f64 v[142:143], v[72:73], s[12:13], v[194:195]
	v_fma_f64 v[71:72], v[72:73], s[10:11], v[164:165]
	;; [unrolled: 1-line block ×6, first 2 shown]
	v_add_f64 v[14:15], v[14:15], -v[38:39]
	v_fma_f64 v[104:105], v[182:183], s[4:5], v[104:105]
	v_fma_f64 v[40:41], v[170:171], s[4:5], v[40:41]
	s_waitcnt vmcnt(0)
	s_waitcnt_vscnt null, 0x0
	s_barrier
	v_fma_f64 v[110:111], v[208:209], s[4:5], v[110:111]
	buffer_gl0_inv
	v_fma_f64 v[136:137], v[198:199], s[4:5], v[136:137]
	v_fma_f64 v[108:109], v[198:199], s[4:5], v[108:109]
	v_fma_f64 v[58:59], v[48:49], s[4:5], v[58:59]
	v_fma_f64 v[48:49], v[48:49], s[4:5], v[124:125]
	v_fma_f64 v[28:29], v[158:159], s[10:11], v[28:29]
	v_fma_f64 v[128:129], v[158:159], s[12:13], v[128:129]
	v_fma_f64 v[46:47], v[54:55], s[12:13], v[46:47]
	v_fma_f64 v[54:55], v[54:55], s[10:11], v[152:153]
	v_fma_f64 v[146:147], v[76:77], s[10:11], v[200:201]
	v_add_f64 v[18:19], v[26:27], v[34:35]
	v_fma_f64 v[134:135], v[220:221], s[4:5], v[142:143]
	v_fma_f64 v[38:39], v[220:221], s[4:5], v[71:72]
	v_add_f64 v[22:23], v[26:27], -v[34:35]
	v_mul_f64 v[26:27], v[88:89], s[16:17]
	v_fma_f64 v[34:35], v[144:145], s[4:5], v[86:87]
	v_mul_f64 v[86:87], v[114:115], s[4:5]
	v_fma_f64 v[130:131], v[196:197], s[4:5], v[130:131]
	v_fma_f64 v[98:99], v[196:197], s[4:5], v[98:99]
	;; [unrolled: 1-line block ×4, first 2 shown]
	v_fma_f64 v[86:87], v[112:113], s[16:17], -v[86:87]
	s_delay_alu instid0(VALU_DEP_2)
	v_mul_f64 v[152:153], v[142:143], s[16:17]
	v_mov_b32_e32 v231, v187
	v_fma_f64 v[174:175], v[186:187], s[16:17], v[122:123]
	v_fma_f64 v[122:123], v[186:187], s[14:15], v[122:123]
	v_mov_b32_e32 v230, v186
	v_fma_f64 v[186:187], v[76:77], s[14:15], v[156:157]
	v_fma_f64 v[156:157], v[76:77], s[16:17], v[156:157]
	;; [unrolled: 1-line block ×3, first 2 shown]
	s_delay_alu instid0(VALU_DEP_4)
	v_fma_f64 v[42:43], v[230:231], s[10:11], v[90:91]
	v_fma_f64 v[116:117], v[230:231], s[12:13], v[116:117]
	v_add_f64 v[8:9], v[184:185], v[8:9]
	v_fma_f64 v[184:185], v[100:101], s[14:15], v[126:127]
	v_fma_f64 v[126:127], v[100:101], s[16:17], v[126:127]
	;; [unrolled: 1-line block ×5, first 2 shown]
	v_mul_f64 v[174:175], v[58:59], s[0:1]
	v_fma_f64 v[118:119], v[80:81], s[10:11], v[186:187]
	v_fma_f64 v[80:81], v[80:81], s[12:13], v[156:157]
	v_add_f64 v[8:9], v[8:9], v[0:1]
	v_fma_f64 v[0:1], v[60:61], s[14:15], v[243:244]
	v_fma_f64 v[140:141], v[102:103], s[12:13], v[184:185]
	;; [unrolled: 1-line block ×7, first 2 shown]
	v_add_f64 v[16:17], v[24:25], v[32:33]
	v_fma_f64 v[100:101], v[144:145], s[4:5], v[100:101]
	v_fma_f64 v[90:91], v[178:179], s[4:5], v[90:91]
	;; [unrolled: 1-line block ×6, first 2 shown]
	v_add_f64 v[4:5], v[8:9], -v[20:21]
	v_fma_f64 v[120:121], v[56:57], s[10:11], v[0:1]
	v_fma_f64 v[56:57], v[56:57], s[12:13], v[226:227]
	v_add_f64 v[0:1], v[8:9], v[20:21]
	v_add_f64 v[8:9], v[12:13], v[36:37]
	v_add_f64 v[12:13], v[12:13], -v[36:37]
	v_fma_f64 v[36:37], v[218:219], s[4:5], v[76:77]
	v_fma_f64 v[75:76], v[212:213], s[4:5], v[78:79]
	v_fma_f64 v[79:80], v[84:85], s[4:5], v[132:133]
	v_fma_f64 v[60:61], v[62:63], s[4:5], v[60:61]
	v_add_f64 v[20:21], v[24:25], -v[32:33]
	v_mul_f64 v[24:25], v[150:151], s[14:15]
	v_fma_f64 v[32:33], v[69:70], s[4:5], v[42:43]
	v_mul_f64 v[42:43], v[112:113], s[4:5]
	v_fma_f64 v[132:133], v[176:177], s[4:5], v[140:141]
	v_mul_f64 v[140:141], v[106:107], s[0:1]
	v_fma_f64 v[126:127], v[212:213], s[4:5], v[126:127]
	v_fma_f64 v[69:70], v[69:70], s[4:5], v[116:117]
	v_mul_f64 v[116:117], v[134:135], s[14:15]
	v_fma_f64 v[150:151], v[150:151], s[4:5], v[26:27]
	v_fma_f64 v[102:103], v[176:177], s[4:5], v[102:103]
	;; [unrolled: 1-line block ×5, first 2 shown]
	v_mul_f64 v[146:147], v[118:119], s[0:1]
	v_mul_f64 v[118:119], v[118:119], s[12:13]
	v_mul_f64 v[124:125], v[71:72], s[0:1]
	v_fma_f64 v[77:78], v[234:235], s[4:5], v[120:121]
	v_fma_f64 v[120:121], v[62:63], s[4:5], v[138:139]
	;; [unrolled: 1-line block ×4, first 2 shown]
	v_mul_f64 v[67:68], v[154:155], s[0:1]
	v_mul_f64 v[84:85], v[154:155], s[12:13]
	;; [unrolled: 1-line block ×8, first 2 shown]
	v_fma_f64 v[88:89], v[88:89], s[4:5], v[24:25]
	v_fma_f64 v[114:115], v[114:115], s[14:15], -v[42:43]
	v_fma_f64 v[104:105], v[104:105], s[12:13], -v[140:141]
	v_fma_f64 v[116:117], v[142:143], s[4:5], v[116:117]
	v_fma_f64 v[142:143], v[50:51], s[4:5], v[73:74]
	v_add_f64 v[42:43], v[102:103], v[86:87]
	v_fma_f64 v[140:141], v[126:127], s[10:11], v[146:147]
	v_fma_f64 v[118:119], v[126:127], s[0:1], v[118:119]
	v_fma_f64 v[124:125], v[75:76], s[10:11], -v[124:125]
	v_fma_f64 v[126:127], v[50:51], s[4:5], v[44:45]
	v_fma_f64 v[146:147], v[52:53], s[4:5], v[46:47]
	v_add_f64 v[46:47], v[102:103], -v[86:87]
	v_mul_f64 v[158:159], v[77:78], s[0:1]
	v_mul_f64 v[77:78], v[77:78], s[12:13]
	;; [unrolled: 1-line block ×5, first 2 shown]
	v_fma_f64 v[67:68], v[40:41], s[10:11], v[67:68]
	v_fma_f64 v[40:41], v[40:41], s[0:1], v[84:85]
	v_fma_f64 v[106:107], v[106:107], s[10:11], -v[138:139]
	v_fma_f64 v[84:85], v[208:209], s[4:5], v[148:149]
	v_fma_f64 v[148:149], v[210:211], s[4:5], v[172:173]
	v_fma_f64 v[144:145], v[38:39], s[14:15], -v[144:145]
	v_fma_f64 v[154:155], v[36:37], s[16:17], -v[154:155]
	;; [unrolled: 1-line block ×3, first 2 shown]
	v_fma_f64 v[138:139], v[222:223], s[4:5], v[30:31]
	v_fma_f64 v[120:121], v[120:121], s[4:5], v[162:163]
	;; [unrolled: 1-line block ×3, first 2 shown]
	v_add_f64 v[50:51], v[100:101], v[104:105]
	v_add_f64 v[36:37], v[90:91], -v[88:89]
	v_add_f64 v[38:39], v[132:133], -v[150:151]
	;; [unrolled: 1-line block ×4, first 2 shown]
	v_fma_f64 v[158:159], v[48:49], s[10:11], v[158:159]
	v_fma_f64 v[176:177], v[48:49], s[0:1], v[77:78]
	;; [unrolled: 1-line block ×3, first 2 shown]
	v_fma_f64 v[164:165], v[62:63], s[14:15], -v[166:167]
	v_fma_f64 v[166:167], v[60:61], s[16:17], -v[168:169]
	v_fma_f64 v[168:169], v[58:59], s[10:11], -v[170:171]
	v_fma_f64 v[170:171], v[56:57], s[12:13], -v[174:175]
	v_add_f64 v[24:25], v[32:33], v[67:68]
	v_add_f64 v[26:27], v[34:35], v[40:41]
	v_add_f64 v[28:29], v[32:33], -v[67:68]
	v_add_f64 v[30:31], v[34:35], -v[40:41]
	v_add_f64 v[32:33], v[90:91], v[88:89]
	v_add_f64 v[34:35], v[132:133], v[150:151]
	;; [unrolled: 1-line block ×4, first 2 shown]
	v_add_f64 v[52:53], v[69:70], -v[106:107]
	v_add_f64 v[56:57], v[130:131], v[140:141]
	v_add_f64 v[58:59], v[136:137], v[118:119]
	;; [unrolled: 1-line block ×6, first 2 shown]
	v_add_f64 v[69:70], v[84:85], -v[116:117]
	v_add_f64 v[79:80], v[81:82], -v[154:155]
	v_add_f64 v[81:82], v[98:99], v[124:125]
	v_add_f64 v[83:84], v[108:109], v[156:157]
	v_add_f64 v[60:61], v[130:131], -v[140:141]
	v_add_f64 v[62:63], v[136:137], -v[118:119]
	v_add_f64 v[71:72], v[148:149], -v[134:135]
	v_add_f64 v[77:78], v[110:111], -v[144:145]
	v_add_f64 v[85:86], v[98:99], -v[124:125]
	v_add_f64 v[87:88], v[108:109], -v[156:157]
	v_add_f64 v[106:107], v[126:127], v[120:121]
	v_add_f64 v[110:111], v[126:127], -v[120:121]
	v_add3_u32 v91, 0, v237, v240
	v_add_co_u32 v89, s0, s8, v160
	s_delay_alu instid0(VALU_DEP_1)
	v_add_co_ci_u32_e64 v90, s0, s9, v161, s0
	v_add_f64 v[98:99], v[112:113], v[158:159]
	v_add_f64 v[100:101], v[138:139], v[176:177]
	;; [unrolled: 1-line block ×7, first 2 shown]
	v_add_f64 v[102:103], v[112:113], -v[158:159]
	v_add_f64 v[104:105], v[138:139], -v[176:177]
	;; [unrolled: 1-line block ×7, first 2 shown]
	ds_store_b128 v91, v[0:3]
	ds_store_b128 v91, v[24:27] offset:16
	ds_store_b128 v91, v[32:35] offset:32
	;; [unrolled: 1-line block ×29, first 2 shown]
	v_and_b32_e32 v4, 0xff, v236
	v_dual_mov_b32 v66, v64 :: v_dual_add_nc_u32 v65, 5, v92
	v_add_nc_u32_e32 v71, 25, v92
	v_lshlrev_b32_e32 v67, 1, v236
	s_delay_alu instid0(VALU_DEP_4) | instskip(NEXT) | instid1(VALU_DEP_4)
	v_mul_lo_u16 v6, 0xcd, v4
	v_dual_mov_b32 v68, v64 :: v_dual_lshlrev_b32 v63, 2, v65
	s_waitcnt lgkmcnt(0)
	s_barrier
	s_delay_alu instid0(VALU_DEP_2) | instskip(NEXT) | instid1(VALU_DEP_2)
	v_lshrrev_b16 v6, 11, v6
	v_lshlrev_b64 v[4:5], 4, v[63:64]
	buffer_gl0_inv
	s_clause 0x2
	global_load_b128 v[0:3], v[89:90], off
	global_load_b128 v[48:51], v[89:90], off offset:16
	global_load_b128 v[40:43], v[89:90], off offset:32
	v_mul_lo_u16 v6, v6, 10
	v_add_co_u32 v4, s0, s8, v4
	s_delay_alu instid0(VALU_DEP_1) | instskip(NEXT) | instid1(VALU_DEP_3)
	v_add_co_ci_u32_e64 v5, s0, s9, v5, s0
	v_sub_nc_u16 v6, v236, v6
	v_dual_mov_b32 v236, v64 :: v_dual_and_b32 v7, 0xff, v71
	s_clause 0x2
	global_load_b128 v[32:35], v[4:5], off
	global_load_b128 v[28:31], v[4:5], off offset:16
	global_load_b128 v[16:19], v[4:5], off offset:32
	v_and_b32_e32 v69, 0xff, v6
	v_mul_lo_u16 v7, 0xcd, v7
	global_load_b128 v[36:39], v[89:90], off offset:48
	v_lshlrev_b32_e32 v65, 1, v65
	v_lshlrev_b64 v[67:68], 4, v[67:68]
	v_lshlrev_b32_e32 v9, 6, v69
	v_lshrrev_b16 v7, 11, v7
	s_delay_alu instid0(VALU_DEP_4)
	v_lshlrev_b64 v[65:66], 4, v[65:66]
	global_load_b128 v[24:27], v9, s[8:9]
	v_mul_lo_u16 v8, v7, 10
	s_clause 0x2
	global_load_b128 v[4:7], v[4:5], off offset:48
	global_load_b128 v[20:23], v9, s[8:9] offset:16
	global_load_b128 v[12:15], v9, s[8:9] offset:32
	v_add_co_u32 v65, s0, s8, v65
	v_sub_nc_u16 v8, v71, v8
	v_add_co_ci_u32_e64 v66, s0, s9, v66, s0
	v_add_co_u32 v67, s0, s8, v67
	s_delay_alu instid0(VALU_DEP_3) | instskip(SKIP_1) | instid1(VALU_DEP_2)
	v_and_b32_e32 v70, 0xff, v8
	v_add_co_ci_u32_e64 v68, s0, s9, v68, s0
	v_lshlrev_b32_e32 v60, 6, v70
	s_clause 0x4
	global_load_b128 v[8:11], v9, s[8:9] offset:48
	global_load_b128 v[44:47], v60, s[8:9]
	global_load_b128 v[52:55], v60, s[8:9] offset:16
	global_load_b128 v[56:59], v60, s[8:9] offset:32
	;; [unrolled: 1-line block ×3, first 2 shown]
	ds_load_b128 v[72:75], v93 offset:480
	ds_load_b128 v[76:79], v93 offset:640
	ds_load_b128 v[80:83], v93 offset:560
	ds_load_b128 v[84:87], v93 offset:720
	ds_load_b128 v[88:91], v93 offset:960
	ds_load_b128 v[98:101], v93 offset:1040
	ds_load_b128 v[102:105], v93 offset:1120
	ds_load_b128 v[106:109], v93 offset:1200
	ds_load_b128 v[110:113], v93 offset:1440
	ds_load_b128 v[114:117], v93 offset:1520
	ds_load_b128 v[118:121], v93 offset:1600
	ds_load_b128 v[122:125], v93 offset:1680
	ds_load_b128 v[126:129], v93 offset:1920
	ds_load_b128 v[130:133], v93 offset:2000
	ds_load_b128 v[134:137], v93 offset:2080
	ds_load_b128 v[138:141], v93 offset:2160
	ds_load_b128 v[142:145], v93 offset:800
	ds_load_b128 v[146:149], v93 offset:880
	ds_load_b128 v[150:153], v93 offset:1280
	ds_load_b128 v[154:157], v93 offset:1360
	ds_load_b128 v[158:161], v93 offset:1760
	ds_load_b128 v[162:165], v93 offset:1840
	ds_load_b128 v[166:169], v93 offset:2240
	ds_load_b128 v[170:173], v93 offset:2320
	s_waitcnt vmcnt(15) lgkmcnt(22)
	v_mul_f64 v[178:179], v[78:79], v[2:3]
	s_waitcnt vmcnt(14) lgkmcnt(19)
	v_mul_f64 v[180:181], v[90:91], v[50:51]
	v_mul_f64 v[182:183], v[88:89], v[50:51]
	s_waitcnt lgkmcnt(17)
	v_mul_f64 v[184:185], v[104:105], v[50:51]
	v_mul_f64 v[50:51], v[102:103], v[50:51]
	s_waitcnt vmcnt(13) lgkmcnt(15)
	v_mul_f64 v[186:187], v[112:113], v[42:43]
	v_mul_f64 v[188:189], v[110:111], v[42:43]
	s_waitcnt lgkmcnt(13)
	v_mul_f64 v[190:191], v[120:121], v[42:43]
	v_mul_f64 v[42:43], v[118:119], v[42:43]
	;; [unrolled: 1-line block ×4, first 2 shown]
	s_waitcnt vmcnt(12)
	v_mul_f64 v[198:199], v[82:83], v[34:35]
	v_mul_f64 v[200:201], v[80:81], v[34:35]
	s_waitcnt vmcnt(11)
	v_mul_f64 v[206:207], v[100:101], v[30:31]
	v_mul_f64 v[208:209], v[98:99], v[30:31]
	;; [unrolled: 1-line block ×4, first 2 shown]
	s_waitcnt vmcnt(10)
	v_mul_f64 v[214:215], v[116:117], v[18:19]
	v_mul_f64 v[216:217], v[114:115], v[18:19]
	s_waitcnt lgkmcnt(12)
	v_mul_f64 v[218:219], v[124:125], v[18:19]
	v_mul_f64 v[18:19], v[122:123], v[18:19]
	;; [unrolled: 1-line block ×3, first 2 shown]
	s_waitcnt vmcnt(9) lgkmcnt(11)
	v_mul_f64 v[192:193], v[128:129], v[38:39]
	v_mul_f64 v[194:195], v[126:127], v[38:39]
	s_waitcnt lgkmcnt(9)
	v_mul_f64 v[196:197], v[136:137], v[38:39]
	v_mul_f64 v[38:39], v[134:135], v[38:39]
	s_waitcnt vmcnt(7)
	v_mul_f64 v[220:221], v[132:133], v[6:7]
	v_mul_f64 v[222:223], v[130:131], v[6:7]
	;; [unrolled: 1-line block ×4, first 2 shown]
	s_waitcnt lgkmcnt(8)
	v_mul_f64 v[224:225], v[140:141], v[6:7]
	v_mul_f64 v[6:7], v[138:139], v[6:7]
	s_waitcnt lgkmcnt(7)
	v_mul_f64 v[226:227], v[144:145], v[26:27]
	v_mul_f64 v[26:27], v[142:143], v[26:27]
	s_waitcnt vmcnt(5) lgkmcnt(3)
	v_mul_f64 v[228:229], v[160:161], v[14:15]
	v_mul_f64 v[14:15], v[158:159], v[14:15]
	v_fma_f64 v[76:77], v[76:77], v[0:1], -v[178:179]
	v_mul_f64 v[178:179], v[152:153], v[22:23]
	v_mul_f64 v[22:23], v[150:151], v[22:23]
	v_fma_f64 v[88:89], v[88:89], v[48:49], -v[180:181]
	v_fma_f64 v[90:91], v[90:91], v[48:49], v[182:183]
	s_waitcnt vmcnt(4) lgkmcnt(1)
	v_mul_f64 v[180:181], v[168:169], v[10:11]
	v_fma_f64 v[102:103], v[102:103], v[48:49], -v[184:185]
	v_fma_f64 v[50:51], v[104:105], v[48:49], v[50:51]
	v_mul_f64 v[10:11], v[166:167], v[10:11]
	s_waitcnt vmcnt(3)
	v_mul_f64 v[104:105], v[148:149], v[46:47]
	v_mul_f64 v[182:183], v[146:147], v[46:47]
	s_waitcnt vmcnt(2)
	v_mul_f64 v[184:185], v[156:157], v[54:55]
	v_fma_f64 v[110:111], v[110:111], v[40:41], -v[186:187]
	v_mul_f64 v[54:55], v[154:155], v[54:55]
	s_waitcnt vmcnt(1)
	v_mul_f64 v[186:187], v[164:165], v[58:59]
	v_fma_f64 v[42:43], v[120:121], v[40:41], v[42:43]
	v_mul_f64 v[58:59], v[162:163], v[58:59]
	s_waitcnt vmcnt(0) lgkmcnt(0)
	v_mul_f64 v[120:121], v[172:173], v[62:63]
	v_mul_f64 v[62:63], v[170:171], v[62:63]
	v_fma_f64 v[80:81], v[80:81], v[32:33], -v[198:199]
	v_fma_f64 v[82:83], v[82:83], v[32:33], v[200:201]
	v_fma_f64 v[98:99], v[98:99], v[28:29], -v[206:207]
	v_fma_f64 v[100:101], v[100:101], v[28:29], v[208:209]
	;; [unrolled: 2-line block ×3, first 2 shown]
	v_fma_f64 v[108:109], v[114:115], v[16:17], -v[214:215]
	v_fma_f64 v[114:115], v[130:131], v[4:5], -v[220:221]
	v_fma_f64 v[116:117], v[116:117], v[16:17], v[216:217]
	v_fma_f64 v[122:123], v[122:123], v[16:17], -v[218:219]
	v_fma_f64 v[16:17], v[124:125], v[16:17], v[18:19]
	v_fma_f64 v[18:19], v[132:133], v[4:5], v[222:223]
	v_fma_f64 v[174:175], v[72:73], v[0:1], -v[174:175]
	v_fma_f64 v[176:177], v[74:75], v[0:1], v[176:177]
	;; [unrolled: 3-line block ×3, first 2 shown]
	v_fma_f64 v[134:135], v[134:135], v[36:37], -v[196:197]
	v_fma_f64 v[136:137], v[136:137], v[36:37], v[38:39]
	ds_load_b128 v[0:3], v239
	ds_load_b128 v[34:37], v93 offset:80
	v_fma_f64 v[118:119], v[118:119], v[40:41], -v[190:191]
	v_fma_f64 v[84:85], v[84:85], v[32:33], -v[202:203]
	v_fma_f64 v[86:87], v[86:87], v[32:33], v[204:205]
	v_fma_f64 v[124:125], v[138:139], v[4:5], -v[224:225]
	v_fma_f64 v[130:131], v[140:141], v[4:5], v[6:7]
	;; [unrolled: 2-line block ×9, first 2 shown]
	v_fma_f64 v[58:59], v[172:173], v[60:61], v[62:63]
	v_fma_f64 v[112:113], v[112:113], v[40:41], v[188:189]
	s_waitcnt lgkmcnt(0)
	v_add_f64 v[186:187], v[34:35], v[80:81]
	v_add_f64 v[188:189], v[36:37], v[82:83]
	v_fma_f64 v[56:57], v[170:171], v[60:61], -v[120:121]
	v_add_f64 v[162:163], v[98:99], v[108:109]
	v_add_f64 v[166:167], v[80:81], v[114:115]
	;; [unrolled: 1-line block ×3, first 2 shown]
	ds_load_b128 v[38:41], v93 offset:160
	ds_load_b128 v[46:49], v93 offset:240
	v_add_f64 v[180:181], v[50:51], v[42:43]
	v_add_f64 v[168:169], v[82:83], v[18:19]
	;; [unrolled: 1-line block ×4, first 2 shown]
	v_add_f64 v[60:61], v[174:175], -v[88:89]
	v_add_f64 v[62:63], v[126:127], -v[110:111]
	v_add_f64 v[190:191], v[106:107], v[122:123]
	v_add_f64 v[182:183], v[76:77], v[134:135]
	;; [unrolled: 1-line block ×10, first 2 shown]
	v_add_f64 v[150:151], v[88:89], -v[174:175]
	v_add_f64 v[154:155], v[110:111], -v[126:127]
	s_waitcnt lgkmcnt(1)
	v_add_f64 v[230:231], v[38:39], v[76:77]
	v_add_f64 v[232:233], v[40:41], v[78:79]
	v_add_f64 v[158:159], v[80:81], -v[98:99]
	v_add_f64 v[160:161], v[114:115], -v[108:109]
	v_add_f64 v[204:205], v[20:21], v[12:13]
	v_add_f64 v[208:209], v[6:7], v[132:133]
	ds_load_b128 v[30:33], v93 offset:320
	ds_load_b128 v[72:75], v93 offset:400
	v_add_f64 v[104:105], v[176:177], -v[90:91]
	v_add_f64 v[152:153], v[90:91], -v[176:177]
	v_add_f64 v[214:215], v[14:15], v[52:53]
	v_add_f64 v[216:217], v[44:45], v[54:55]
	;; [unrolled: 1-line block ×7, first 2 shown]
	v_fma_f64 v[162:163], v[162:163], -0.5, v[34:35]
	v_fma_f64 v[34:35], v[166:167], -0.5, v[34:35]
	;; [unrolled: 1-line block ×3, first 2 shown]
	s_waitcnt lgkmcnt(2)
	v_add_f64 v[166:167], v[46:47], v[84:85]
	v_add_f64 v[120:121], v[128:129], -v[112:113]
	v_fma_f64 v[36:37], v[168:169], -0.5, v[36:37]
	v_add_f64 v[168:169], v[48:49], v[86:87]
	v_add_f64 v[146:147], v[146:147], v[88:89]
	v_add_f64 v[148:149], v[148:149], v[90:91]
	v_add_f64 v[156:157], v[112:113], -v[128:129]
	v_add_f64 v[170:171], v[82:83], -v[100:101]
	;; [unrolled: 1-line block ×4, first 2 shown]
	v_add_f64 v[202:203], v[24:25], v[22:23]
	v_add_f64 v[206:207], v[4:5], v[26:27]
	v_add_f64 v[210:211], v[108:109], -v[114:115]
	v_fma_f64 v[178:179], v[178:179], -0.5, v[38:39]
	v_fma_f64 v[38:39], v[182:183], -0.5, v[38:39]
	s_waitcnt lgkmcnt(1)
	v_add_f64 v[182:183], v[30:31], v[4:5]
	v_fma_f64 v[180:181], v[180:181], -0.5, v[40:41]
	v_fma_f64 v[40:41], v[184:185], -0.5, v[40:41]
	v_add_f64 v[184:185], v[32:33], v[6:7]
	v_add_f64 v[230:231], v[230:231], v[102:103]
	;; [unrolled: 1-line block ×3, first 2 shown]
	v_fma_f64 v[190:191], v[190:191], -0.5, v[46:47]
	v_fma_f64 v[192:193], v[192:193], -0.5, v[48:49]
	;; [unrolled: 1-line block ×4, first 2 shown]
	s_waitcnt lgkmcnt(0)
	v_add_f64 v[194:195], v[72:73], v[8:9]
	v_add_f64 v[196:197], v[74:75], v[10:11]
	;; [unrolled: 1-line block ×3, first 2 shown]
	v_add_f64 v[62:63], v[130:131], -v[16:17]
	v_fma_f64 v[216:217], v[216:217], -0.5, v[74:75]
	v_fma_f64 v[74:75], v[220:221], -0.5, v[74:75]
	v_add_f64 v[220:221], v[86:87], -v[28:29]
	v_fma_f64 v[138:139], v[138:139], -0.5, v[0:1]
	v_fma_f64 v[140:141], v[140:141], -0.5, v[2:3]
	v_add_f64 v[176:177], v[176:177], -v[128:129]
	v_add_f64 v[174:175], v[174:175], -v[126:127]
	;; [unrolled: 1-line block ×4, first 2 shown]
	v_add_f64 v[166:167], v[166:167], v[106:107]
	v_add_f64 v[226:227], v[78:79], -v[50:51]
	v_add_f64 v[228:229], v[136:137], -v[42:43]
	v_add_f64 v[168:169], v[168:169], v[28:29]
	v_add_f64 v[234:235], v[102:103], -v[76:77]
	v_fma_f64 v[0:1], v[142:143], -0.5, v[0:1]
	v_fma_f64 v[2:3], v[144:145], -0.5, v[2:3]
	v_add_f64 v[144:145], v[118:119], -v[134:135]
	v_add_f64 v[88:89], v[88:89], -v[110:111]
	v_add_f64 v[110:111], v[146:147], v[110:111]
	v_add_f64 v[146:147], v[14:15], -v[8:9]
	v_add_f64 v[90:91], v[90:91], -v[112:113]
	v_add_f64 v[112:113], v[148:149], v[112:113]
	v_add_f64 v[148:149], v[52:53], -v[56:57]
	v_add_f64 v[98:99], v[98:99], -v[108:109]
	;; [unrolled: 1-line block ×3, first 2 shown]
	v_add_f64 v[108:109], v[186:187], v[108:109]
	v_add_f64 v[186:187], v[44:45], -v[10:11]
	v_add_f64 v[116:117], v[188:189], v[116:117]
	v_add_f64 v[188:189], v[54:55], -v[58:59]
	v_add_f64 v[82:83], v[82:83], -v[18:19]
	;; [unrolled: 1-line block ×3, first 2 shown]
	v_add_f64 v[150:151], v[150:151], v[154:155]
	v_add_f64 v[154:155], v[28:29], -v[86:87]
	v_add_f64 v[158:159], v[158:159], v[160:161]
	v_add_f64 v[160:161], v[16:17], -v[130:131]
	v_fma_f64 v[204:205], v[204:205], -0.5, v[32:33]
	v_fma_f64 v[32:33], v[208:209], -0.5, v[32:33]
	v_add_f64 v[208:209], v[84:85], -v[106:107]
	v_fma_f64 v[214:215], v[214:215], -0.5, v[72:73]
	v_fma_f64 v[72:73], v[218:219], -0.5, v[72:73]
	v_add_f64 v[218:219], v[124:125], -v[122:123]
	v_add_f64 v[222:223], v[76:77], -v[102:103]
	;; [unrolled: 1-line block ×3, first 2 shown]
	v_fma_f64 v[202:203], v[202:203], -0.5, v[30:31]
	v_fma_f64 v[30:31], v[206:207], -0.5, v[30:31]
	v_add_f64 v[206:207], v[42:43], -v[136:137]
	v_add_f64 v[104:105], v[104:105], v[120:121]
	v_add_f64 v[120:121], v[106:107], -v[84:85]
	v_add_f64 v[152:153], v[152:153], v[156:157]
	;; [unrolled: 2-line block ×4, first 2 shown]
	v_add_f64 v[210:211], v[26:27], -v[22:23]
	v_add_f64 v[78:79], v[78:79], -v[136:137]
	;; [unrolled: 1-line block ×5, first 2 shown]
	v_add_f64 v[118:119], v[230:231], v[118:119]
	v_add_f64 v[50:51], v[50:51], -v[42:43]
	v_add_f64 v[42:43], v[232:233], v[42:43]
	v_add_f64 v[182:183], v[182:183], v[24:25]
	v_add_f64 v[86:87], v[86:87], -v[130:131]
	v_add_f64 v[84:85], v[84:85], -v[124:125]
	v_add_f64 v[220:221], v[220:221], v[62:63]
	v_add_f64 v[62:63], v[8:9], -v[14:15]
	v_add_f64 v[106:107], v[106:107], -v[122:123]
	;; [unrolled: 1-line block ×3, first 2 shown]
	v_add_f64 v[184:185], v[184:185], v[20:21]
	v_add_f64 v[194:195], v[194:195], v[14:15]
	v_add_f64 v[251:252], v[14:15], -v[52:53]
	v_add_f64 v[14:15], v[166:167], v[122:123]
	v_add_f64 v[16:17], v[168:169], v[16:17]
	v_add_f64 v[243:244], v[6:7], -v[132:133]
	v_add_f64 v[245:246], v[4:5], -v[26:27]
	v_fma_f64 v[122:123], v[176:177], s[14:15], v[138:139]
	v_fma_f64 v[138:139], v[176:177], s[16:17], v[138:139]
	;; [unrolled: 1-line block ×4, first 2 shown]
	v_add_f64 v[200:201], v[200:201], v[212:213]
	v_add_f64 v[212:213], v[6:7], -v[20:21]
	v_add_f64 v[226:227], v[226:227], v[228:229]
	v_add_f64 v[228:229], v[24:25], -v[4:5]
	;; [unrolled: 2-line block ×3, first 2 shown]
	v_add_f64 v[20:21], v[20:21], -v[12:13]
	v_add_f64 v[24:25], v[24:25], -v[22:23]
	v_add_f64 v[146:147], v[146:147], v[148:149]
	v_add_f64 v[148:149], v[186:187], v[188:189]
	v_fma_f64 v[168:169], v[90:91], s[16:17], v[0:1]
	v_fma_f64 v[186:187], v[90:91], s[14:15], v[0:1]
	v_add_f64 v[247:248], v[10:11], -v[58:59]
	v_add_f64 v[249:250], v[8:9], -v[56:57]
	v_fma_f64 v[188:189], v[88:89], s[14:15], v[2:3]
	v_fma_f64 v[253:254], v[88:89], s[16:17], v[2:3]
	v_add_f64 v[0:1], v[110:111], v[126:127]
	v_add_f64 v[2:3], v[112:113], v[128:129]
	v_fma_f64 v[110:111], v[82:83], s[14:15], v[162:163]
	v_fma_f64 v[112:113], v[80:81], s[16:17], v[164:165]
	v_fma_f64 v[126:127], v[82:83], s[16:17], v[162:163]
	v_fma_f64 v[128:129], v[80:81], s[14:15], v[164:165]
	v_add_f64 v[154:155], v[154:155], v[160:161]
	v_add_f64 v[160:161], v[10:11], -v[44:45]
	v_add_f64 v[196:197], v[196:197], v[44:45]
	v_add_f64 v[44:45], v[44:45], -v[54:55]
	v_add_f64 v[4:5], v[108:109], v[114:115]
	v_add_f64 v[6:7], v[116:117], v[18:19]
	v_fma_f64 v[18:19], v[100:101], s[16:17], v[34:35]
	v_fma_f64 v[34:35], v[100:101], s[14:15], v[34:35]
	;; [unrolled: 1-line block ×4, first 2 shown]
	v_add_f64 v[208:209], v[208:209], v[218:219]
	v_add_f64 v[218:219], v[12:13], -v[132:133]
	v_add_f64 v[142:143], v[142:143], v[206:207]
	v_add_f64 v[206:207], v[22:23], -v[26:27]
	;; [unrolled: 2-line block ×4, first 2 shown]
	v_fma_f64 v[114:115], v[78:79], s[14:15], v[178:179]
	v_fma_f64 v[162:163], v[76:77], s[16:17], v[180:181]
	v_add_f64 v[22:23], v[182:183], v[22:23]
	v_fma_f64 v[164:165], v[78:79], s[16:17], v[178:179]
	v_fma_f64 v[178:179], v[76:77], s[14:15], v[180:181]
	;; [unrolled: 1-line block ×3, first 2 shown]
	v_add_f64 v[8:9], v[118:119], v[134:135]
	v_add_f64 v[10:11], v[42:43], v[136:137]
	v_fma_f64 v[42:43], v[86:87], s[14:15], v[190:191]
	v_fma_f64 v[118:119], v[84:85], s[16:17], v[192:193]
	;; [unrolled: 1-line block ×3, first 2 shown]
	v_add_f64 v[222:223], v[222:223], v[224:225]
	v_add_f64 v[224:225], v[132:133], -v[12:13]
	v_add_f64 v[116:117], v[184:185], v[12:13]
	v_fma_f64 v[136:137], v[84:85], s[14:15], v[192:193]
	v_add_f64 v[12:13], v[14:15], v[124:125]
	v_add_f64 v[14:15], v[16:17], v[130:131]
	v_fma_f64 v[16:17], v[28:29], s[16:17], v[46:47]
	v_fma_f64 v[124:125], v[106:107], s[14:15], v[48:49]
	v_fma_f64 v[38:39], v[50:51], s[14:15], v[38:39]
	v_fma_f64 v[40:41], v[102:103], s[16:17], v[40:41]
	v_fma_f64 v[46:47], v[28:29], s[14:15], v[46:47]
	v_fma_f64 v[48:49], v[106:107], s[16:17], v[48:49]
	v_fma_f64 v[134:135], v[86:87], s[16:17], v[190:191]
	v_fma_f64 v[122:123], v[90:91], s[10:11], v[122:123]
	v_fma_f64 v[90:91], v[90:91], s[12:13], v[138:139]
	v_fma_f64 v[130:131], v[243:244], s[14:15], v[202:203]
	v_fma_f64 v[138:139], v[88:89], s[12:13], v[166:167]
	v_fma_f64 v[88:89], v[88:89], s[10:11], v[140:141]
	v_fma_f64 v[140:141], v[245:246], s[16:17], v[204:205]
	v_fma_f64 v[168:169], v[176:177], s[10:11], v[168:169]
	v_fma_f64 v[176:177], v[176:177], s[12:13], v[186:187]
	v_fma_f64 v[186:187], v[20:21], s[16:17], v[30:31]
	v_fma_f64 v[190:191], v[24:25], s[14:15], v[32:33]
	v_fma_f64 v[30:31], v[20:21], s[14:15], v[30:31]
	v_fma_f64 v[32:33], v[24:25], s[16:17], v[32:33]
	v_fma_f64 v[166:167], v[243:244], s[16:17], v[202:203]
	v_fma_f64 v[184:185], v[245:246], s[14:15], v[204:205]
	v_fma_f64 v[110:111], v[100:101], s[10:11], v[110:111]
	v_fma_f64 v[100:101], v[100:101], s[12:13], v[126:127]
	v_fma_f64 v[126:127], v[247:248], s[14:15], v[214:215]
	v_fma_f64 v[112:113], v[98:99], s[12:13], v[112:113]
	v_fma_f64 v[98:99], v[98:99], s[10:11], v[128:129]
	v_fma_f64 v[128:129], v[249:250], s[16:17], v[216:217]
	v_add_f64 v[54:55], v[196:197], v[54:55]
	v_fma_f64 v[196:197], v[82:83], s[10:11], v[18:19]
	v_fma_f64 v[82:83], v[82:83], s[12:13], v[34:35]
	;; [unrolled: 1-line block ×6, first 2 shown]
	v_add_f64 v[218:219], v[234:235], v[218:219]
	v_dual_mov_b32 v235, v64 :: v_dual_lshlrev_b32 v234, 1, v71
	v_fma_f64 v[71:72], v[44:45], s[14:15], v[72:73]
	v_fma_f64 v[73:74], v[251:252], s[16:17], v[74:75]
	v_add_f64 v[52:53], v[194:195], v[52:53]
	v_fma_f64 v[192:193], v[247:248], s[16:17], v[214:215]
	v_fma_f64 v[194:195], v[249:250], s[14:15], v[216:217]
	;; [unrolled: 1-line block ×4, first 2 shown]
	v_add_f64 v[206:207], v[228:229], v[206:207]
	v_mov_b32_e32 v229, v64
	v_add_f64 v[156:157], v[62:63], v[156:157]
	v_add_f64 v[160:161], v[160:161], v[210:211]
	v_mov_b32_e32 v211, v64
	v_lshlrev_b64 v[241:242], 4, v[234:235]
	v_lshlrev_b32_e32 v62, 4, v69
	v_lshlrev_b32_e32 v234, 4, v70
	v_fma_f64 v[69:70], v[50:51], s[10:11], v[114:115]
	v_fma_f64 v[162:163], v[102:103], s[12:13], v[162:163]
	;; [unrolled: 1-line block ×16, first 2 shown]
	v_add_f64 v[212:213], v[212:213], v[224:225]
	v_fma_f64 v[130:131], v[20:21], s[10:11], v[130:131]
	v_fma_f64 v[140:141], v[24:25], s[12:13], v[140:141]
	v_add_f64 v[18:19], v[116:117], v[132:133]
	v_fma_f64 v[116:117], v[243:244], s[10:11], v[186:187]
	v_fma_f64 v[186:187], v[245:246], s[12:13], v[190:191]
	;; [unrolled: 1-line block ×14, first 2 shown]
	v_add_f64 v[16:17], v[22:23], v[26:27]
	v_fma_f64 v[24:25], v[60:61], s[4:5], v[122:123]
	v_fma_f64 v[26:27], v[104:105], s[4:5], v[138:139]
	;; [unrolled: 1-line block ×10, first 2 shown]
	v_add_f64 v[20:21], v[52:53], v[56:57]
	v_add_f64 v[22:23], v[54:55], v[58:59]
	v_fma_f64 v[52:53], v[198:199], s[4:5], v[82:83]
	v_fma_f64 v[54:55], v[200:201], s[4:5], v[80:81]
	;; [unrolled: 1-line block ×28, first 2 shown]
	v_lshlrev_b32_e32 v63, 1, v92
	v_fma_f64 v[110:111], v[172:173], s[4:5], v[166:167]
	v_fma_f64 v[112:113], v[212:213], s[4:5], v[184:185]
	;; [unrolled: 1-line block ×8, first 2 shown]
	v_lshlrev_b64 v[232:233], 4, v[63:64]
	v_fma_f64 v[126:127], v[156:157], s[4:5], v[192:193]
	v_fma_f64 v[128:129], v[160:161], s[4:5], v[194:195]
	v_mov_b32_e32 v225, v64
	v_dual_mov_b32 v231, v64 :: v_dual_add_nc_u32 v224, 20, v63
	v_add_co_u32 v60, s0, s8, v232
	s_delay_alu instid0(VALU_DEP_1)
	v_add_co_ci_u32_e64 v61, s0, s9, v233, s0
	v_add3_u32 v62, 0, v62, v240
	v_add3_u32 v89, 0, v234, v240
	s_barrier
	buffer_gl0_inv
	ds_store_b128 v93, v[0:3]
	ds_store_b128 v93, v[4:7] offset:80
	ds_store_b128 v93, v[8:11] offset:800
	ds_store_b128 v93, v[12:15] offset:880
	ds_store_b128 v93, v[24:27] offset:160
	ds_store_b128 v93, v[40:43] offset:240
	ds_store_b128 v93, v[32:35] offset:320
	ds_store_b128 v93, v[48:51] offset:400
	ds_store_b128 v93, v[36:39] offset:480
	ds_store_b128 v93, v[52:55] offset:560
	ds_store_b128 v93, v[28:31] offset:640
	ds_store_b128 v93, v[44:47] offset:720
	ds_store_b128 v93, v[56:59] offset:960
	ds_store_b128 v93, v[81:84] offset:1040
	ds_store_b128 v93, v[73:76] offset:1120
	ds_store_b128 v93, v[98:101] offset:1200
	ds_store_b128 v93, v[77:80] offset:1280
	ds_store_b128 v93, v[102:105] offset:1360
	ds_store_b128 v93, v[69:72] offset:1440
	ds_store_b128 v93, v[85:88] offset:1520
	ds_store_b128 v62, v[16:19] offset:1600
	ds_store_b128 v62, v[106:109] offset:1760
	ds_store_b128 v62, v[114:117] offset:1920
	ds_store_b128 v62, v[118:121] offset:2080
	ds_store_b128 v62, v[110:113] offset:2240
	ds_store_b128 v89, v[20:23] offset:1600
	ds_store_b128 v89, v[122:125] offset:1760
	ds_store_b128 v89, v[130:133] offset:1920
	ds_store_b128 v89, v[134:137] offset:2080
	ds_store_b128 v89, v[126:129] offset:2240
	v_lshlrev_b64 v[8:9], 4, v[224:225]
	v_add_co_u32 v44, s0, s8, v241
	s_waitcnt lgkmcnt(0)
	s_barrier
	buffer_gl0_inv
	s_clause 0x1
	global_load_b128 v[0:3], v[60:61], off offset:640
	global_load_b128 v[4:7], v[60:61], off offset:656
	v_add_co_ci_u32_e64 v45, s0, s9, v242, s0
	v_add_co_u32 v20, s0, s8, v8
	s_delay_alu instid0(VALU_DEP_1)
	v_add_co_ci_u32_e64 v21, s0, s9, v9, s0
	global_load_b128 v[8:11], v[65:66], off offset:640
	v_add_nc_u32_e32 v228, 30, v63
	v_add_nc_u32_e32 v235, 60, v63
	;; [unrolled: 1-line block ×3, first 2 shown]
	v_or_b32_e32 v230, 0x50, v63
	v_add_nc_u32_e32 v63, 0x5a, v63
	v_lshlrev_b64 v[12:13], 4, v[228:229]
	v_lshlrev_b64 v[28:29], 4, v[235:236]
	v_lshlrev_b64 v[46:47], 4, v[210:211]
	v_lshlrev_b64 v[56:57], 4, v[230:231]
	v_lshlrev_b64 v[71:72], 4, v[63:64]
	s_mov_b32 s5, 0xbfebb67a
	v_add_co_u32 v30, s0, s8, v12
	s_delay_alu instid0(VALU_DEP_1)
	v_add_co_ci_u32_e64 v31, s0, s9, v13, s0
	v_add_co_u32 v52, s0, s8, v28
	s_clause 0x3
	global_load_b128 v[12:15], v[65:66], off offset:656
	global_load_b128 v[16:19], v[20:21], off offset:640
	;; [unrolled: 1-line block ×4, first 2 shown]
	v_add_co_ci_u32_e64 v53, s0, s9, v29, s0
	v_add_co_u32 v60, s0, s8, v46
	s_delay_alu instid0(VALU_DEP_1)
	v_add_co_ci_u32_e64 v61, s0, s9, v47, s0
	s_clause 0x3
	global_load_b128 v[28:31], v[30:31], off offset:656
	global_load_b128 v[32:35], v[67:68], off offset:640
	;; [unrolled: 1-line block ×4, first 2 shown]
	v_add_co_u32 v69, s0, s8, v56
	s_delay_alu instid0(VALU_DEP_1)
	v_add_co_ci_u32_e64 v70, s0, s9, v57, s0
	s_clause 0x2
	global_load_b128 v[44:47], v[44:45], off offset:656
	global_load_b128 v[48:51], v[52:53], off offset:640
	;; [unrolled: 1-line block ×3, first 2 shown]
	v_add_co_u32 v77, s0, s8, v71
	s_delay_alu instid0(VALU_DEP_1)
	v_add_co_ci_u32_e64 v78, s0, s9, v72, s0
	s_clause 0x5
	global_load_b128 v[56:59], v[60:61], off offset:640
	global_load_b128 v[60:63], v[60:61], off offset:656
	;; [unrolled: 1-line block ×6, first 2 shown]
	ds_load_b128 v[81:84], v93 offset:800
	ds_load_b128 v[85:88], v93 offset:1600
	;; [unrolled: 1-line block ×20, first 2 shown]
	ds_load_b128 v[170:173], v239
	ds_load_b128 v[174:177], v93 offset:80
	ds_load_b128 v[178:181], v93 offset:160
	;; [unrolled: 1-line block ×3, first 2 shown]
	s_mov_b32 s0, 0xe8584caa
	s_mov_b32 s1, 0x3febb67a
	;; [unrolled: 1-line block ×3, first 2 shown]
	s_waitcnt vmcnt(19) lgkmcnt(23)
	v_mul_f64 v[89:90], v[83:84], v[2:3]
	s_waitcnt vmcnt(18) lgkmcnt(22)
	v_mul_f64 v[186:187], v[87:88], v[6:7]
	v_mul_f64 v[2:3], v[81:82], v[2:3]
	;; [unrolled: 1-line block ×3, first 2 shown]
	s_waitcnt vmcnt(17) lgkmcnt(21)
	v_mul_f64 v[188:189], v[100:101], v[10:11]
	v_mul_f64 v[10:11], v[98:99], v[10:11]
	s_waitcnt vmcnt(16) lgkmcnt(20)
	v_mul_f64 v[190:191], v[104:105], v[14:15]
	v_mul_f64 v[14:15], v[102:103], v[14:15]
	;; [unrolled: 3-line block ×4, first 2 shown]
	s_waitcnt vmcnt(13)
	v_mul_f64 v[196:197], v[112:113], v[26:27]
	v_mul_f64 v[26:27], v[110:111], v[26:27]
	s_waitcnt vmcnt(12) lgkmcnt(16)
	v_mul_f64 v[198:199], v[120:121], v[30:31]
	v_mul_f64 v[30:31], v[118:119], v[30:31]
	s_waitcnt vmcnt(11) lgkmcnt(15)
	;; [unrolled: 3-line block ×3, first 2 shown]
	v_mul_f64 v[202:203], v[132:133], v[38:39]
	v_mul_f64 v[38:39], v[130:131], v[38:39]
	s_waitcnt vmcnt(9)
	v_mul_f64 v[204:205], v[128:129], v[42:43]
	v_mul_f64 v[42:43], v[126:127], v[42:43]
	s_waitcnt vmcnt(8) lgkmcnt(12)
	v_mul_f64 v[206:207], v[136:137], v[46:47]
	v_mul_f64 v[46:47], v[134:135], v[46:47]
	s_waitcnt vmcnt(7) lgkmcnt(11)
	;; [unrolled: 3-line block ×3, first 2 shown]
	v_mul_f64 v[210:211], v[148:149], v[54:55]
	v_mul_f64 v[54:55], v[146:147], v[54:55]
	v_fma_f64 v[81:82], v[81:82], v[0:1], -v[89:90]
	s_waitcnt vmcnt(5)
	v_mul_f64 v[89:90], v[144:145], v[58:59]
	v_mul_f64 v[58:59], v[142:143], v[58:59]
	s_waitcnt vmcnt(4) lgkmcnt(8)
	v_mul_f64 v[212:213], v[152:153], v[62:63]
	v_mul_f64 v[62:63], v[150:151], v[62:63]
	v_fma_f64 v[85:86], v[85:86], v[4:5], -v[186:187]
	s_waitcnt vmcnt(3) lgkmcnt(7)
	v_mul_f64 v[186:187], v[156:157], v[67:68]
	v_mul_f64 v[67:68], v[154:155], v[67:68]
	s_waitcnt vmcnt(2) lgkmcnt(5)
	v_mul_f64 v[214:215], v[164:165], v[71:72]
	v_mul_f64 v[71:72], v[162:163], v[71:72]
	v_fma_f64 v[98:99], v[98:99], v[8:9], -v[188:189]
	s_waitcnt vmcnt(1)
	v_mul_f64 v[188:189], v[160:161], v[75:76]
	v_mul_f64 v[75:76], v[158:159], v[75:76]
	s_waitcnt vmcnt(0) lgkmcnt(4)
	v_mul_f64 v[216:217], v[168:169], v[79:80]
	v_mul_f64 v[79:80], v[166:167], v[79:80]
	v_fma_f64 v[83:84], v[83:84], v[0:1], v[2:3]
	v_fma_f64 v[87:88], v[87:88], v[4:5], v[6:7]
	v_fma_f64 v[100:101], v[100:101], v[8:9], v[10:11]
	v_fma_f64 v[102:103], v[102:103], v[12:13], -v[190:191]
	v_fma_f64 v[104:105], v[104:105], v[12:13], v[14:15]
	v_fma_f64 v[106:107], v[106:107], v[16:17], -v[192:193]
	v_fma_f64 v[108:109], v[108:109], v[16:17], v[18:19]
	;; [unrolled: 2-line block ×15, first 2 shown]
	ds_load_b128 v[0:3], v93 offset:320
	ds_load_b128 v[4:7], v93 offset:400
	v_fma_f64 v[62:63], v[158:159], v[73:74], -v[188:189]
	v_fma_f64 v[65:66], v[160:161], v[73:74], v[75:76]
	v_fma_f64 v[67:68], v[166:167], v[77:78], -v[216:217]
	v_fma_f64 v[69:70], v[168:169], v[77:78], v[79:80]
	ds_load_b128 v[8:11], v93 offset:480
	ds_load_b128 v[12:15], v93 offset:560
	ds_load_b128 v[16:19], v93 offset:640
	ds_load_b128 v[20:23], v93 offset:720
	v_add_f64 v[71:72], v[81:82], v[85:86]
	v_add_f64 v[73:74], v[83:84], v[87:88]
	s_waitcnt lgkmcnt(9)
	v_add_f64 v[75:76], v[172:173], v[83:84]
	v_add_f64 v[79:80], v[83:84], -v[87:88]
	v_add_f64 v[83:84], v[98:99], v[102:103]
	v_add_f64 v[89:90], v[100:101], v[104:105]
	;; [unrolled: 1-line block ×7, first 2 shown]
	s_waitcnt lgkmcnt(8)
	v_add_f64 v[124:125], v[176:177], v[100:101]
	v_add_f64 v[126:127], v[174:175], v[98:99]
	;; [unrolled: 1-line block ×4, first 2 shown]
	s_waitcnt lgkmcnt(7)
	v_add_f64 v[134:135], v[178:179], v[106:107]
	s_waitcnt lgkmcnt(6)
	v_add_f64 v[142:143], v[182:183], v[110:111]
	v_add_f64 v[158:159], v[30:31], v[40:41]
	;; [unrolled: 1-line block ×7, first 2 shown]
	s_waitcnt lgkmcnt(5)
	v_add_f64 v[150:151], v[2:3], v[28:29]
	v_add_f64 v[152:153], v[0:1], v[26:27]
	;; [unrolled: 1-line block ×4, first 2 shown]
	s_waitcnt lgkmcnt(2)
	v_add_f64 v[202:203], v[14:15], v[48:49]
	v_add_f64 v[206:207], v[48:49], -v[52:53]
	v_add_f64 v[48:49], v[54:55], v[58:59]
	v_add_f64 v[210:211], v[56:57], v[60:61]
	s_waitcnt lgkmcnt(1)
	v_add_f64 v[212:213], v[18:19], v[56:57]
	v_add_f64 v[214:215], v[16:17], v[54:55]
	v_add_f64 v[216:217], v[56:57], -v[60:61]
	v_add_f64 v[218:219], v[54:55], -v[58:59]
	v_add_f64 v[54:55], v[62:63], v[67:68]
	v_add_f64 v[56:57], v[65:66], v[69:70]
	;; [unrolled: 1-line block ×7, first 2 shown]
	s_waitcnt lgkmcnt(0)
	v_add_f64 v[220:221], v[22:23], v[65:66]
	v_add_f64 v[222:223], v[20:21], v[62:63]
	v_add_f64 v[81:82], v[81:82], -v[85:86]
	v_add_f64 v[224:225], v[65:66], -v[69:70]
	;; [unrolled: 1-line block ×3, first 2 shown]
	v_fma_f64 v[62:63], v[71:72], -0.5, v[170:171]
	v_fma_f64 v[65:66], v[73:74], -0.5, v[172:173]
	v_add_f64 v[100:101], v[100:101], -v[104:105]
	v_add_f64 v[98:99], v[98:99], -v[102:103]
	v_fma_f64 v[71:72], v[83:84], -0.5, v[174:175]
	v_fma_f64 v[73:74], v[89:90], -0.5, v[176:177]
	v_add_f64 v[108:109], v[108:109], -v[116:117]
	v_add_f64 v[106:107], v[106:107], -v[114:115]
	;; [unrolled: 1-line block ×4, first 2 shown]
	v_add_f64 v[26:27], v[75:76], v[87:88]
	v_add_f64 v[24:25], v[77:78], v[85:86]
	v_fma_f64 v[75:76], v[128:129], -0.5, v[178:179]
	v_fma_f64 v[77:78], v[130:131], -0.5, v[180:181]
	v_add_f64 v[110:111], v[110:111], -v[112:113]
	v_fma_f64 v[83:84], v[136:137], -0.5, v[182:183]
	v_fma_f64 v[85:86], v[138:139], -0.5, v[184:185]
	v_add_f64 v[154:155], v[28:29], -v[122:123]
	;; [unrolled: 3-line block ×3, first 2 shown]
	v_add_f64 v[168:169], v[30:31], -v[40:41]
	v_add_f64 v[30:31], v[124:125], v[104:105]
	v_add_f64 v[28:29], v[126:127], v[102:103]
	v_fma_f64 v[102:103], v[158:159], -0.5, v[4:5]
	v_fma_f64 v[104:105], v[160:161], -0.5, v[6:7]
	v_add_f64 v[194:195], v[36:37], -v[46:47]
	v_add_f64 v[196:197], v[34:35], -v[44:45]
	v_add_f64 v[32:33], v[134:135], v[114:115]
	v_add_f64 v[36:37], v[142:143], v[112:113]
	v_fma_f64 v[112:113], v[186:187], -0.5, v[8:9]
	v_fma_f64 v[114:115], v[188:189], -0.5, v[10:11]
	v_add_f64 v[208:209], v[38:39], -v[50:51]
	v_add_f64 v[34:35], v[132:133], v[116:117]
	v_add_f64 v[38:39], v[140:141], v[118:119]
	v_fma_f64 v[116:117], v[198:199], -0.5, v[12:13]
	v_fma_f64 v[118:119], v[200:201], -0.5, v[14:15]
	v_add_f64 v[2:3], v[150:151], v[122:123]
	v_add_f64 v[0:1], v[152:153], v[120:121]
	v_fma_f64 v[120:121], v[48:49], -0.5, v[16:17]
	v_fma_f64 v[122:123], v[210:211], -0.5, v[18:19]
	;; [unrolled: 1-line block ×4, first 2 shown]
	v_add_f64 v[6:7], v[162:163], v[42:43]
	v_add_f64 v[4:5], v[164:165], v[40:41]
	;; [unrolled: 1-line block ×10, first 2 shown]
	v_fma_f64 v[40:41], v[79:80], s[0:1], v[62:63]
	v_fma_f64 v[42:43], v[81:82], s[4:5], v[65:66]
	;; [unrolled: 1-line block ×40, first 2 shown]
	s_barrier
	buffer_gl0_inv
	ds_store_b128 v93, v[24:27]
	ds_store_b128 v93, v[28:31] offset:80
	ds_store_b128 v93, v[32:35] offset:160
	;; [unrolled: 1-line block ×29, first 2 shown]
	s_waitcnt lgkmcnt(0)
	s_barrier
	buffer_gl0_inv
	s_and_saveexec_b32 s0, vcc_lo
	s_cbranch_execz .LBB0_20
; %bb.19:
	v_mul_lo_u32 v2, s3, v96
	v_mul_lo_u32 v3, s2, v97
	v_mad_u64_u32 v[0:1], null, s2, v96, 0
	v_mov_b32_e32 v93, v64
	v_lshlrev_b64 v[8:9], 4, v[94:95]
	v_lshl_add_u32 v34, v92, 4, v238
	v_add_nc_u32_e32 v63, 5, v92
	s_delay_alu instid0(VALU_DEP_4) | instskip(SKIP_1) | instid1(VALU_DEP_3)
	v_lshlrev_b64 v[10:11], 4, v[92:93]
	v_add3_u32 v1, v1, v3, v2
	v_lshlrev_b64 v[16:17], 4, v[63:64]
	v_add_nc_u32_e32 v63, 10, v92
	s_delay_alu instid0(VALU_DEP_3)
	v_lshlrev_b64 v[12:13], 4, v[0:1]
	ds_load_b128 v[0:3], v34
	ds_load_b128 v[4:7], v34 offset:80
	v_lshlrev_b64 v[18:19], 4, v[63:64]
	v_add_nc_u32_e32 v63, 15, v92
	v_add_co_u32 v12, vcc_lo, s6, v12
	v_add_co_ci_u32_e32 v13, vcc_lo, s7, v13, vcc_lo
	s_delay_alu instid0(VALU_DEP_3) | instskip(NEXT) | instid1(VALU_DEP_3)
	v_lshlrev_b64 v[22:23], 4, v[63:64]
	v_add_co_u32 v36, vcc_lo, v12, v8
	s_delay_alu instid0(VALU_DEP_3) | instskip(SKIP_1) | instid1(VALU_DEP_3)
	v_add_co_ci_u32_e32 v37, vcc_lo, v13, v9, vcc_lo
	v_add_nc_u32_e32 v63, 20, v92
	v_add_co_u32 v20, vcc_lo, v36, v10
	s_delay_alu instid0(VALU_DEP_3)
	v_add_co_ci_u32_e32 v21, vcc_lo, v37, v11, vcc_lo
	ds_load_b128 v[8:11], v34 offset:160
	ds_load_b128 v[12:15], v34 offset:240
	v_add_co_u32 v16, vcc_lo, v36, v16
	v_add_co_ci_u32_e32 v17, vcc_lo, v37, v17, vcc_lo
	v_add_co_u32 v18, vcc_lo, v36, v18
	v_add_co_ci_u32_e32 v19, vcc_lo, v37, v19, vcc_lo
	v_add_co_u32 v22, vcc_lo, v36, v22
	v_lshlrev_b64 v[24:25], 4, v[63:64]
	v_add_nc_u32_e32 v63, 25, v92
	v_add_co_ci_u32_e32 v23, vcc_lo, v37, v23, vcc_lo
	s_waitcnt lgkmcnt(3)
	global_store_b128 v[20:21], v[0:3], off
	s_waitcnt lgkmcnt(2)
	global_store_b128 v[16:17], v[4:7], off
	;; [unrolled: 2-line block ×4, first 2 shown]
	v_lshlrev_b64 v[16:17], 4, v[63:64]
	v_add_nc_u32_e32 v63, 30, v92
	ds_load_b128 v[0:3], v34 offset:320
	ds_load_b128 v[4:7], v34 offset:400
	;; [unrolled: 1-line block ×4, first 2 shown]
	v_add_co_u32 v18, vcc_lo, v36, v24
	v_lshlrev_b64 v[20:21], 4, v[63:64]
	v_add_nc_u32_e32 v63, 35, v92
	v_add_co_ci_u32_e32 v19, vcc_lo, v37, v25, vcc_lo
	v_add_co_u32 v16, vcc_lo, v36, v16
	s_delay_alu instid0(VALU_DEP_3)
	v_lshlrev_b64 v[22:23], 4, v[63:64]
	v_add_nc_u32_e32 v63, 40, v92
	v_add_co_ci_u32_e32 v17, vcc_lo, v37, v17, vcc_lo
	v_add_co_u32 v20, vcc_lo, v36, v20
	v_add_co_ci_u32_e32 v21, vcc_lo, v37, v21, vcc_lo
	v_add_co_u32 v22, vcc_lo, v36, v22
	v_lshlrev_b64 v[24:25], 4, v[63:64]
	v_add_nc_u32_e32 v63, 45, v92
	v_add_co_ci_u32_e32 v23, vcc_lo, v37, v23, vcc_lo
	s_waitcnt lgkmcnt(3)
	global_store_b128 v[18:19], v[0:3], off
	s_waitcnt lgkmcnt(2)
	global_store_b128 v[16:17], v[4:7], off
	s_waitcnt lgkmcnt(1)
	global_store_b128 v[20:21], v[8:11], off
	s_waitcnt lgkmcnt(0)
	global_store_b128 v[22:23], v[12:15], off
	ds_load_b128 v[0:3], v34 offset:640
	ds_load_b128 v[4:7], v34 offset:720
	v_lshlrev_b64 v[16:17], 4, v[63:64]
	v_add_nc_u32_e32 v63, 50, v92
	ds_load_b128 v[8:11], v34 offset:800
	ds_load_b128 v[12:15], v34 offset:880
	v_add_co_u32 v18, vcc_lo, v36, v24
	v_add_co_ci_u32_e32 v19, vcc_lo, v37, v25, vcc_lo
	v_lshlrev_b64 v[20:21], 4, v[63:64]
	v_add_nc_u32_e32 v63, 55, v92
	v_add_co_u32 v16, vcc_lo, v36, v16
	v_add_co_ci_u32_e32 v17, vcc_lo, v37, v17, vcc_lo
	s_delay_alu instid0(VALU_DEP_3) | instskip(SKIP_3) | instid1(VALU_DEP_4)
	v_lshlrev_b64 v[22:23], 4, v[63:64]
	v_add_nc_u32_e32 v63, 60, v92
	v_add_co_u32 v20, vcc_lo, v36, v20
	v_add_co_ci_u32_e32 v21, vcc_lo, v37, v21, vcc_lo
	v_add_co_u32 v22, vcc_lo, v36, v22
	s_delay_alu instid0(VALU_DEP_4)
	v_lshlrev_b64 v[24:25], 4, v[63:64]
	v_add_nc_u32_e32 v63, 0x41, v92
	v_add_co_ci_u32_e32 v23, vcc_lo, v37, v23, vcc_lo
	s_waitcnt lgkmcnt(3)
	global_store_b128 v[18:19], v[0:3], off
	s_waitcnt lgkmcnt(2)
	global_store_b128 v[16:17], v[4:7], off
	s_waitcnt lgkmcnt(1)
	global_store_b128 v[20:21], v[8:11], off
	s_waitcnt lgkmcnt(0)
	global_store_b128 v[22:23], v[12:15], off
	ds_load_b128 v[0:3], v34 offset:960
	ds_load_b128 v[4:7], v34 offset:1040
	v_lshlrev_b64 v[16:17], 4, v[63:64]
	v_add_nc_u32_e32 v63, 0x46, v92
	ds_load_b128 v[8:11], v34 offset:1120
	ds_load_b128 v[12:15], v34 offset:1200
	v_add_co_u32 v18, vcc_lo, v36, v24
	v_add_co_ci_u32_e32 v19, vcc_lo, v37, v25, vcc_lo
	v_lshlrev_b64 v[20:21], 4, v[63:64]
	v_add_nc_u32_e32 v63, 0x4b, v92
	v_add_co_u32 v16, vcc_lo, v36, v16
	v_add_co_ci_u32_e32 v17, vcc_lo, v37, v17, vcc_lo
	s_delay_alu instid0(VALU_DEP_3) | instskip(SKIP_3) | instid1(VALU_DEP_4)
	v_lshlrev_b64 v[22:23], 4, v[63:64]
	v_add_nc_u32_e32 v63, 0x50, v92
	v_add_co_u32 v20, vcc_lo, v36, v20
	v_add_co_ci_u32_e32 v21, vcc_lo, v37, v21, vcc_lo
	v_add_co_u32 v22, vcc_lo, v36, v22
	s_delay_alu instid0(VALU_DEP_4)
	;; [unrolled: 30-line block ×3, first 2 shown]
	v_lshlrev_b64 v[24:25], 4, v[63:64]
	v_add_nc_u32_e32 v63, 0x69, v92
	v_add_co_ci_u32_e32 v23, vcc_lo, v37, v23, vcc_lo
	s_waitcnt lgkmcnt(3)
	global_store_b128 v[18:19], v[0:3], off
	s_waitcnt lgkmcnt(2)
	global_store_b128 v[16:17], v[4:7], off
	;; [unrolled: 2-line block ×4, first 2 shown]
	ds_load_b128 v[0:3], v34 offset:1600
	ds_load_b128 v[4:7], v34 offset:1680
	v_lshlrev_b64 v[16:17], 4, v[63:64]
	v_add_nc_u32_e32 v63, 0x6e, v92
	ds_load_b128 v[8:11], v34 offset:1760
	ds_load_b128 v[12:15], v34 offset:1840
	v_add_co_u32 v18, vcc_lo, v36, v24
	v_add_co_ci_u32_e32 v19, vcc_lo, v37, v25, vcc_lo
	v_lshlrev_b64 v[20:21], 4, v[63:64]
	v_add_nc_u32_e32 v63, 0x73, v92
	v_add_co_u32 v16, vcc_lo, v36, v16
	v_add_co_ci_u32_e32 v17, vcc_lo, v37, v17, vcc_lo
	s_delay_alu instid0(VALU_DEP_3) | instskip(SKIP_3) | instid1(VALU_DEP_3)
	v_lshlrev_b64 v[22:23], 4, v[63:64]
	v_add_nc_u32_e32 v63, 0x78, v92
	v_add_co_u32 v20, vcc_lo, v36, v20
	v_add_co_ci_u32_e32 v21, vcc_lo, v37, v21, vcc_lo
	v_lshlrev_b64 v[24:25], 4, v[63:64]
	v_add_nc_u32_e32 v63, 0x7d, v92
	v_add_co_u32 v22, vcc_lo, v36, v22
	v_add_co_ci_u32_e32 v23, vcc_lo, v37, v23, vcc_lo
	s_waitcnt lgkmcnt(3)
	global_store_b128 v[18:19], v[0:3], off
	s_waitcnt lgkmcnt(2)
	global_store_b128 v[16:17], v[4:7], off
	;; [unrolled: 2-line block ×4, first 2 shown]
	v_lshlrev_b64 v[8:9], 4, v[63:64]
	v_add_nc_u32_e32 v63, 0x82, v92
	v_add_co_u32 v24, vcc_lo, v36, v24
	v_add_co_ci_u32_e32 v25, vcc_lo, v37, v25, vcc_lo
	s_delay_alu instid0(VALU_DEP_3) | instskip(SKIP_3) | instid1(VALU_DEP_4)
	v_lshlrev_b64 v[10:11], 4, v[63:64]
	v_add_co_u32 v26, vcc_lo, v36, v8
	v_add_nc_u32_e32 v63, 0x87, v92
	v_add_co_ci_u32_e32 v27, vcc_lo, v37, v9, vcc_lo
	v_add_co_u32 v30, vcc_lo, v36, v10
	ds_load_b128 v[0:3], v34 offset:1920
	ds_load_b128 v[4:7], v34 offset:2000
	v_add_co_ci_u32_e32 v31, vcc_lo, v37, v11, vcc_lo
	ds_load_b128 v[8:11], v34 offset:2080
	ds_load_b128 v[12:15], v34 offset:2160
	;; [unrolled: 1-line block ×4, first 2 shown]
	v_lshlrev_b64 v[28:29], 4, v[63:64]
	v_add_nc_u32_e32 v63, 0x8c, v92
	s_delay_alu instid0(VALU_DEP_1) | instskip(SKIP_1) | instid1(VALU_DEP_4)
	v_lshlrev_b64 v[32:33], 4, v[63:64]
	v_add_nc_u32_e32 v63, 0x91, v92
	v_add_co_u32 v28, vcc_lo, v36, v28
	v_add_co_ci_u32_e32 v29, vcc_lo, v37, v29, vcc_lo
	s_delay_alu instid0(VALU_DEP_3) | instskip(SKIP_2) | instid1(VALU_DEP_3)
	v_lshlrev_b64 v[34:35], 4, v[63:64]
	v_add_co_u32 v32, vcc_lo, v36, v32
	v_add_co_ci_u32_e32 v33, vcc_lo, v37, v33, vcc_lo
	v_add_co_u32 v34, vcc_lo, v36, v34
	s_delay_alu instid0(VALU_DEP_4)
	v_add_co_ci_u32_e32 v35, vcc_lo, v37, v35, vcc_lo
	s_waitcnt lgkmcnt(5)
	global_store_b128 v[24:25], v[0:3], off
	s_waitcnt lgkmcnt(4)
	global_store_b128 v[26:27], v[4:7], off
	;; [unrolled: 2-line block ×6, first 2 shown]
.LBB0_20:
	s_nop 0
	s_sendmsg sendmsg(MSG_DEALLOC_VGPRS)
	s_endpgm
	.section	.rodata,"a",@progbits
	.p2align	6, 0x0
	.amdhsa_kernel fft_rtc_fwd_len150_factors_10_5_3_wgs_60_tpt_5_halfLds_dp_op_CI_CI_unitstride_sbrr_C2R_dirReg
		.amdhsa_group_segment_fixed_size 0
		.amdhsa_private_segment_fixed_size 20
		.amdhsa_kernarg_size 104
		.amdhsa_user_sgpr_count 15
		.amdhsa_user_sgpr_dispatch_ptr 0
		.amdhsa_user_sgpr_queue_ptr 0
		.amdhsa_user_sgpr_kernarg_segment_ptr 1
		.amdhsa_user_sgpr_dispatch_id 0
		.amdhsa_user_sgpr_private_segment_size 0
		.amdhsa_wavefront_size32 1
		.amdhsa_uses_dynamic_stack 0
		.amdhsa_enable_private_segment 1
		.amdhsa_system_sgpr_workgroup_id_x 1
		.amdhsa_system_sgpr_workgroup_id_y 0
		.amdhsa_system_sgpr_workgroup_id_z 0
		.amdhsa_system_sgpr_workgroup_info 0
		.amdhsa_system_vgpr_workitem_id 0
		.amdhsa_next_free_vgpr 255
		.amdhsa_next_free_sgpr 27
		.amdhsa_reserve_vcc 1
		.amdhsa_float_round_mode_32 0
		.amdhsa_float_round_mode_16_64 0
		.amdhsa_float_denorm_mode_32 3
		.amdhsa_float_denorm_mode_16_64 3
		.amdhsa_dx10_clamp 1
		.amdhsa_ieee_mode 1
		.amdhsa_fp16_overflow 0
		.amdhsa_workgroup_processor_mode 1
		.amdhsa_memory_ordered 1
		.amdhsa_forward_progress 0
		.amdhsa_shared_vgpr_count 0
		.amdhsa_exception_fp_ieee_invalid_op 0
		.amdhsa_exception_fp_denorm_src 0
		.amdhsa_exception_fp_ieee_div_zero 0
		.amdhsa_exception_fp_ieee_overflow 0
		.amdhsa_exception_fp_ieee_underflow 0
		.amdhsa_exception_fp_ieee_inexact 0
		.amdhsa_exception_int_div_zero 0
	.end_amdhsa_kernel
	.text
.Lfunc_end0:
	.size	fft_rtc_fwd_len150_factors_10_5_3_wgs_60_tpt_5_halfLds_dp_op_CI_CI_unitstride_sbrr_C2R_dirReg, .Lfunc_end0-fft_rtc_fwd_len150_factors_10_5_3_wgs_60_tpt_5_halfLds_dp_op_CI_CI_unitstride_sbrr_C2R_dirReg
                                        ; -- End function
	.section	.AMDGPU.csdata,"",@progbits
; Kernel info:
; codeLenInByte = 18060
; NumSgprs: 29
; NumVgprs: 255
; ScratchSize: 20
; MemoryBound: 0
; FloatMode: 240
; IeeeMode: 1
; LDSByteSize: 0 bytes/workgroup (compile time only)
; SGPRBlocks: 3
; VGPRBlocks: 31
; NumSGPRsForWavesPerEU: 29
; NumVGPRsForWavesPerEU: 255
; Occupancy: 5
; WaveLimiterHint : 1
; COMPUTE_PGM_RSRC2:SCRATCH_EN: 1
; COMPUTE_PGM_RSRC2:USER_SGPR: 15
; COMPUTE_PGM_RSRC2:TRAP_HANDLER: 0
; COMPUTE_PGM_RSRC2:TGID_X_EN: 1
; COMPUTE_PGM_RSRC2:TGID_Y_EN: 0
; COMPUTE_PGM_RSRC2:TGID_Z_EN: 0
; COMPUTE_PGM_RSRC2:TIDIG_COMP_CNT: 0
	.text
	.p2alignl 7, 3214868480
	.fill 96, 4, 3214868480
	.type	__hip_cuid_21a331253b021869,@object ; @__hip_cuid_21a331253b021869
	.section	.bss,"aw",@nobits
	.globl	__hip_cuid_21a331253b021869
__hip_cuid_21a331253b021869:
	.byte	0                               ; 0x0
	.size	__hip_cuid_21a331253b021869, 1

	.ident	"AMD clang version 19.0.0git (https://github.com/RadeonOpenCompute/llvm-project roc-6.4.0 25133 c7fe45cf4b819c5991fe208aaa96edf142730f1d)"
	.section	".note.GNU-stack","",@progbits
	.addrsig
	.addrsig_sym __hip_cuid_21a331253b021869
	.amdgpu_metadata
---
amdhsa.kernels:
  - .args:
      - .actual_access:  read_only
        .address_space:  global
        .offset:         0
        .size:           8
        .value_kind:     global_buffer
      - .offset:         8
        .size:           8
        .value_kind:     by_value
      - .actual_access:  read_only
        .address_space:  global
        .offset:         16
        .size:           8
        .value_kind:     global_buffer
      - .actual_access:  read_only
        .address_space:  global
        .offset:         24
        .size:           8
        .value_kind:     global_buffer
      - .actual_access:  read_only
        .address_space:  global
        .offset:         32
        .size:           8
        .value_kind:     global_buffer
      - .offset:         40
        .size:           8
        .value_kind:     by_value
      - .actual_access:  read_only
        .address_space:  global
        .offset:         48
        .size:           8
        .value_kind:     global_buffer
      - .actual_access:  read_only
        .address_space:  global
        .offset:         56
        .size:           8
        .value_kind:     global_buffer
      - .offset:         64
        .size:           4
        .value_kind:     by_value
      - .actual_access:  read_only
        .address_space:  global
        .offset:         72
        .size:           8
        .value_kind:     global_buffer
      - .actual_access:  read_only
        .address_space:  global
        .offset:         80
        .size:           8
        .value_kind:     global_buffer
      - .actual_access:  read_only
        .address_space:  global
        .offset:         88
        .size:           8
        .value_kind:     global_buffer
      - .actual_access:  write_only
        .address_space:  global
        .offset:         96
        .size:           8
        .value_kind:     global_buffer
    .group_segment_fixed_size: 0
    .kernarg_segment_align: 8
    .kernarg_segment_size: 104
    .language:       OpenCL C
    .language_version:
      - 2
      - 0
    .max_flat_workgroup_size: 60
    .name:           fft_rtc_fwd_len150_factors_10_5_3_wgs_60_tpt_5_halfLds_dp_op_CI_CI_unitstride_sbrr_C2R_dirReg
    .private_segment_fixed_size: 20
    .sgpr_count:     29
    .sgpr_spill_count: 0
    .symbol:         fft_rtc_fwd_len150_factors_10_5_3_wgs_60_tpt_5_halfLds_dp_op_CI_CI_unitstride_sbrr_C2R_dirReg.kd
    .uniform_work_group_size: 1
    .uses_dynamic_stack: false
    .vgpr_count:     255
    .vgpr_spill_count: 4
    .wavefront_size: 32
    .workgroup_processor_mode: 1
amdhsa.target:   amdgcn-amd-amdhsa--gfx1100
amdhsa.version:
  - 1
  - 2
...

	.end_amdgpu_metadata
